;; amdgpu-corpus repo=ROCm/rocFFT kind=compiled arch=gfx950 opt=O3
	.text
	.amdgcn_target "amdgcn-amd-amdhsa--gfx950"
	.amdhsa_code_object_version 6
	.protected	bluestein_single_fwd_len1326_dim1_dp_op_CI_CI ; -- Begin function bluestein_single_fwd_len1326_dim1_dp_op_CI_CI
	.globl	bluestein_single_fwd_len1326_dim1_dp_op_CI_CI
	.p2align	8
	.type	bluestein_single_fwd_len1326_dim1_dp_op_CI_CI,@function
bluestein_single_fwd_len1326_dim1_dp_op_CI_CI: ; @bluestein_single_fwd_len1326_dim1_dp_op_CI_CI
; %bb.0:
	s_load_dwordx4 s[4:7], s[0:1], 0x28
	v_mul_u32_u24_e32 v1, 0x283, v0
	v_lshrrev_b32_e32 v1, 16, v1
	v_lshl_add_u32 v2, s2, 1, v1
	v_mov_b32_e32 v3, 0
	v_accvgpr_write_b32 a2, v2
	s_waitcnt lgkmcnt(0)
	v_cmp_gt_u64_e32 vcc, s[4:5], v[2:3]
	s_and_saveexec_b64 s[2:3], vcc
	s_cbranch_execz .LBB0_23
; %bb.1:
	v_mul_lo_u16_e32 v2, 0x66, v1
	s_load_dwordx2 s[12:13], s[0:1], 0x0
	s_load_dwordx2 s[14:15], s[0:1], 0x38
	v_sub_u16_e32 v2, v0, v2
	v_and_b32_e32 v0, 1, v1
	v_mov_b32_e32 v1, 0x52e
	v_cmp_eq_u32_e32 vcc, 1, v0
	s_movk_i32 s2, 0x4e
	v_cmp_gt_u16_e64 s[4:5], s2, v2
	v_cndmask_b32_e32 v216, 0, v1, vcc
	v_lshlrev_b32_e32 v0, 4, v216
	v_accvgpr_write_b32 a4, v2
	v_lshlrev_b32_e32 v228, 4, v2
	v_accvgpr_write_b32 a1, v0
	s_and_saveexec_b64 s[2:3], s[4:5]
	s_cbranch_execz .LBB0_3
; %bb.2:
	s_load_dwordx2 s[8:9], s[0:1], 0x18
	v_accvgpr_read_b32 v10, a2
	v_mov_b32_e32 v0, s6
	v_mov_b32_e32 v1, s7
	v_accvgpr_read_b32 v138, a4
	s_waitcnt lgkmcnt(0)
	s_load_dwordx4 s[8:11], s[8:9], 0x0
	v_mov_b32_e32 v229, 0
	v_lshl_add_u64 v[24:25], s[12:13], 0, v[228:229]
	v_mov_b32_e32 v22, 0x4e0
	v_accvgpr_read_b32 v141, a1
	s_waitcnt lgkmcnt(0)
	v_mad_u64_u32 v[2:3], s[6:7], s10, v10, 0
	v_mad_u64_u32 v[4:5], s[6:7], s8, v138, 0
	v_mov_b32_e32 v6, v3
	v_mov_b32_e32 v8, v5
	v_mad_u64_u32 v[6:7], s[6:7], s11, v10, v[6:7]
	v_mov_b32_e32 v3, v6
	v_mad_u64_u32 v[6:7], s[6:7], s9, v138, v[8:9]
	s_movk_i32 s6, 0x1000
	s_nop 0
	v_add_co_u32_e32 v52, vcc, s6, v24
	s_movk_i32 s7, 0x2000
	s_nop 0
	v_addc_co_u32_e32 v53, vcc, 0, v25, vcc
	v_add_co_u32_e32 v68, vcc, s7, v24
	v_mov_b32_e32 v5, v6
	v_lshl_add_u64 v[0:1], v[2:3], 4, v[0:1]
	s_movk_i32 s10, 0x3000
	v_addc_co_u32_e32 v69, vcc, 0, v25, vcc
	v_lshl_add_u64 v[20:21], v[4:5], 4, v[0:1]
	v_add_co_u32_e32 v116, vcc, s10, v24
	global_load_dwordx4 v[0:3], v228, s[12:13]
	global_load_dwordx4 v[4:7], v[20:21], off
	s_movk_i32 s11, 0x4000
	v_addc_co_u32_e32 v117, vcc, 0, v25, vcc
	s_mulk_i32 s9, 0x4e0
	v_mad_u64_u32 v[20:21], s[6:7], s8, v22, v[20:21]
	v_add_co_u32_e32 v132, vcc, s11, v24
	v_add_u32_e32 v21, s9, v21
	global_load_dwordx4 v[8:11], v228, s[12:13] offset:1248
	global_load_dwordx4 v[12:15], v228, s[12:13] offset:2496
	;; [unrolled: 1-line block ×3, first 2 shown]
	v_addc_co_u32_e32 v133, vcc, 0, v25, vcc
	global_load_dwordx4 v[24:27], v[20:21], off
	global_load_dwordx4 v[28:31], v[52:53], off offset:896
	global_load_dwordx4 v[32:35], v[52:53], off offset:2144
	v_mad_u64_u32 v[20:21], s[6:7], s8, v22, v[20:21]
	v_add_u32_e32 v21, s9, v21
	global_load_dwordx4 v[36:39], v[20:21], off
	v_mad_u64_u32 v[20:21], s[6:7], s8, v22, v[20:21]
	v_add_u32_e32 v21, s9, v21
	global_load_dwordx4 v[40:43], v[20:21], off
	global_load_dwordx4 v[44:47], v[52:53], off offset:3392
	global_load_dwordx4 v[48:51], v[68:69], off offset:544
	v_mad_u64_u32 v[20:21], s[6:7], s8, v22, v[20:21]
	v_add_u32_e32 v21, s9, v21
	global_load_dwordx4 v[52:55], v[20:21], off
	v_mad_u64_u32 v[20:21], s[6:7], s8, v22, v[20:21]
	v_add_u32_e32 v21, s9, v21
	global_load_dwordx4 v[56:59], v[20:21], off
	global_load_dwordx4 v[60:63], v[68:69], off offset:1792
	global_load_dwordx4 v[64:67], v[68:69], off offset:3040
	v_mad_u64_u32 v[20:21], s[6:7], s8, v22, v[20:21]
	v_add_u32_e32 v21, s9, v21
	global_load_dwordx4 v[68:71], v[20:21], off
	global_load_dwordx4 v[72:75], v[132:133], off offset:3584
	v_mad_u64_u32 v[20:21], s[6:7], s8, v22, v[20:21]
	v_add_u32_e32 v21, s9, v21
	global_load_dwordx4 v[76:79], v[20:21], off
	v_mad_u64_u32 v[20:21], s[6:7], s8, v22, v[20:21]
	v_add_u32_e32 v21, s9, v21
	global_load_dwordx4 v[80:83], v[20:21], off
	;; [unrolled: 3-line block ×4, first 2 shown]
	global_load_dwordx4 v[92:95], v[116:117], off offset:192
	v_mad_u64_u32 v[104:105], s[6:7], s8, v22, v[96:97]
	v_add_u32_e32 v105, s9, v105
	global_load_dwordx4 v[96:99], v[104:105], off
	global_load_dwordx4 v[100:103], v[116:117], off offset:1440
	v_mad_u64_u32 v[112:113], s[6:7], s8, v22, v[104:105]
	v_add_u32_e32 v113, s9, v113
	global_load_dwordx4 v[104:107], v[112:113], off
	;; [unrolled: 4-line block ×3, first 2 shown]
	s_nop 0
	global_load_dwordx4 v[116:119], v[116:117], off offset:3936
	v_mad_u64_u32 v[128:129], s[6:7], s8, v22, v[120:121]
	v_add_u32_e32 v129, s9, v129
	global_load_dwordx4 v[120:123], v[128:129], off
	global_load_dwordx4 v[124:127], v[132:133], off offset:1088
	v_mad_u64_u32 v[136:137], s[6:7], s8, v22, v[128:129]
	v_add_u32_e32 v137, s9, v137
	global_load_dwordx4 v[128:131], v[136:137], off
	s_nop 0
	global_load_dwordx4 v[132:135], v[132:133], off offset:2336
	v_mad_u64_u32 v[22:23], s[6:7], s8, v22, v[136:137]
	v_add_u32_e32 v23, s9, v23
	v_lshl_add_u32 v140, v138, 4, v141
	global_load_dwordx4 v[136:139], v[22:23], off
	s_waitcnt vmcnt(32)
	v_mul_f64 v[20:21], v[6:7], v[2:3]
	v_mul_f64 v[2:3], v[4:5], v[2:3]
	v_fmac_f64_e32 v[20:21], v[4:5], v[0:1]
	v_fma_f64 v[22:23], v[6:7], v[0:1], -v[2:3]
	v_add_u32_e32 v4, v141, v228
	ds_write_b128 v140, v[20:23]
	s_waitcnt vmcnt(28)
	v_mul_f64 v[0:1], v[26:27], v[10:11]
	v_mul_f64 v[2:3], v[24:25], v[10:11]
	v_fmac_f64_e32 v[0:1], v[24:25], v[8:9]
	v_fma_f64 v[2:3], v[26:27], v[8:9], -v[2:3]
	ds_write_b128 v4, v[0:3] offset:1248
	s_waitcnt vmcnt(25)
	v_mul_f64 v[0:1], v[38:39], v[14:15]
	v_mul_f64 v[2:3], v[36:37], v[14:15]
	v_fmac_f64_e32 v[0:1], v[36:37], v[12:13]
	v_fma_f64 v[2:3], v[38:39], v[12:13], -v[2:3]
	ds_write_b128 v4, v[0:3] offset:2496
	;; [unrolled: 6-line block ×16, first 2 shown]
.LBB0_3:
	s_or_b64 exec, exec, s[2:3]
	s_waitcnt lgkmcnt(0)
	s_barrier
	s_waitcnt lgkmcnt(0)
                                        ; implicit-def: $vgpr0_vgpr1
                                        ; implicit-def: $vgpr4_vgpr5
                                        ; implicit-def: $vgpr8_vgpr9
                                        ; implicit-def: $vgpr12_vgpr13
                                        ; implicit-def: $vgpr16_vgpr17
                                        ; implicit-def: $vgpr20_vgpr21
                                        ; implicit-def: $vgpr24_vgpr25
                                        ; implicit-def: $vgpr28_vgpr29
                                        ; implicit-def: $vgpr32_vgpr33
                                        ; implicit-def: $vgpr36_vgpr37
                                        ; implicit-def: $vgpr40_vgpr41
                                        ; implicit-def: $vgpr44_vgpr45
                                        ; implicit-def: $vgpr48_vgpr49
                                        ; implicit-def: $vgpr52_vgpr53
                                        ; implicit-def: $vgpr56_vgpr57
                                        ; implicit-def: $vgpr76_vgpr77
                                        ; implicit-def: $vgpr84_vgpr85
	s_and_saveexec_b64 s[2:3], s[4:5]
	s_cbranch_execz .LBB0_5
; %bb.4:
	v_lshl_add_u32 v60, v216, 4, v228
	ds_read_b128 v[0:3], v60
	ds_read_b128 v[4:7], v60 offset:1248
	ds_read_b128 v[8:11], v60 offset:2496
	;; [unrolled: 1-line block ×16, first 2 shown]
.LBB0_5:
	s_or_b64 exec, exec, s[2:3]
	s_mov_b32 s26, 0x5d8e7cdc
	s_waitcnt lgkmcnt(0)
	v_add_f64 v[104:105], v[6:7], -v[86:87]
	s_mov_b32 s2, 0x370991
	s_mov_b32 s27, 0xbfd71e95
	;; [unrolled: 1-line block ×3, first 2 shown]
	v_add_f64 v[132:133], v[4:5], v[84:85]
	v_add_f64 v[108:109], v[4:5], -v[84:85]
	s_mov_b32 s3, 0x3fedd6d0
	v_mul_f64 v[98:99], v[104:105], s[26:27]
	s_mov_b32 s18, 0x75d4884
	s_mov_b32 s29, 0xbfe58eea
	v_add_f64 v[106:107], v[10:11], -v[78:79]
	v_add_f64 v[134:135], v[6:7], v[86:87]
	v_mul_f64 v[100:101], v[108:109], s[26:27]
	v_fma_f64 v[60:61], s[2:3], v[132:133], v[98:99]
	s_mov_b32 s19, 0x3fe7a5f6
	s_mov_b32 s30, 0x7c9e640b
	v_add_f64 v[140:141], v[8:9], v[76:77]
	v_add_f64 v[110:111], v[8:9], -v[76:77]
	v_mul_f64 v[102:103], v[106:107], s[28:29]
	v_add_f64 v[60:61], v[0:1], v[60:61]
	v_fma_f64 v[62:63], v[134:135], s[2:3], -v[100:101]
	s_mov_b32 s8, 0x2b2883cd
	s_mov_b32 s31, 0xbfeca52d
	v_add_f64 v[144:145], v[10:11], v[78:79]
	v_mul_f64 v[218:219], v[110:111], s[28:29]
	v_fma_f64 v[64:65], s[18:19], v[140:141], v[102:103]
	v_add_f64 v[114:115], v[14:15], -v[58:59]
	v_add_f64 v[62:63], v[2:3], v[62:63]
	s_mov_b32 s9, 0x3fdc86fa
	s_mov_b32 s38, 0xeb564b22
	v_add_f64 v[60:61], v[64:65], v[60:61]
	v_fma_f64 v[64:65], v[144:145], s[18:19], -v[218:219]
	v_add_f64 v[150:151], v[12:13], v[56:57]
	v_add_f64 v[112:113], v[12:13], -v[56:57]
	v_mul_f64 v[220:221], v[114:115], s[30:31]
	s_mov_b32 s16, 0x3259b75e
	s_mov_b32 s39, 0xbfefdd0d
	v_add_f64 v[62:63], v[64:65], v[62:63]
	v_add_f64 v[152:153], v[14:15], v[58:59]
	v_mul_f64 v[222:223], v[112:113], s[30:31]
	v_fma_f64 v[64:65], s[8:9], v[150:151], v[220:221]
	v_add_f64 v[118:119], v[18:19], -v[54:55]
	s_mov_b32 s17, 0x3fb79ee6
	s_mov_b32 s42, 0x923c349f
	v_add_f64 v[60:61], v[64:65], v[60:61]
	v_fma_f64 v[64:65], v[152:153], s[8:9], -v[222:223]
	v_add_f64 v[158:159], v[16:17], v[52:53]
	v_add_f64 v[116:117], v[16:17], -v[52:53]
	v_mul_f64 v[226:227], v[118:119], s[38:39]
	s_mov_b32 s10, 0xc61f0d01
	s_mov_b32 s43, 0xbfeec746
	v_add_f64 v[62:63], v[64:65], v[62:63]
	v_add_f64 v[160:161], v[18:19], v[54:55]
	v_mul_f64 v[230:231], v[116:117], s[38:39]
	v_fma_f64 v[64:65], s[16:17], v[158:159], v[226:227]
	v_add_f64 v[232:233], v[22:23], -v[50:51]
	;; [unrolled: 14-line block ×3, first 2 shown]
	s_mov_b32 s23, 0xbfe348c8
	s_mov_b32 s44, 0x4363dd80
	v_add_f64 v[60:61], v[64:65], v[60:61]
	v_fma_f64 v[64:65], v[166:167], s[10:11], -v[236:237]
	v_add_f64 v[170:171], v[24:25], v[44:45]
	v_add_f64 v[242:243], v[24:25], -v[44:45]
	v_mul_f64 v[238:239], v[248:249], s[36:37]
	s_mov_b32 s24, 0x910ea3b9
	s_mov_b32 s45, 0x3fe0d888
	v_add_f64 v[62:63], v[64:65], v[62:63]
	v_add_f64 v[172:173], v[26:27], v[46:47]
	v_mul_f64 v[240:241], v[242:243], s[36:37]
	v_fma_f64 v[64:65], s[22:23], v[170:171], v[238:239]
	s_mov_b32 s47, 0xbfe0d888
	s_mov_b32 s46, s44
	v_add_f64 v[122:123], v[30:31], -v[42:43]
	s_mov_b32 s40, 0xacd6c6b4
	s_mov_b32 s25, 0xbfeb34fa
	v_add_f64 v[60:61], v[64:65], v[60:61]
	v_fma_f64 v[64:65], v[172:173], s[22:23], -v[240:241]
	v_add_f64 v[178:179], v[28:29], v[40:41]
	v_add_f64 v[254:255], v[28:29], -v[40:41]
	v_mul_f64 v[244:245], v[122:123], s[46:47]
	s_mov_b32 s20, 0x7faef3
	s_mov_b32 s41, 0xbfc7851a
	v_add_f64 v[62:63], v[64:65], v[62:63]
	v_add_f64 v[176:177], v[30:31], v[42:43]
	v_mul_f64 v[246:247], v[254:255], s[46:47]
	v_fma_f64 v[64:65], s[24:25], v[178:179], v[244:245]
	v_add_f64 v[146:147], v[34:35], -v[38:39]
	s_mov_b32 s21, 0xbfef7484
	v_add_f64 v[60:61], v[64:65], v[60:61]
	v_fma_f64 v[64:65], v[176:177], s[24:25], -v[246:247]
	v_add_f64 v[190:191], v[32:33], v[36:37]
	v_mul_f64 v[250:251], v[146:147], s[40:41]
	v_add_f64 v[142:143], v[32:33], -v[36:37]
	v_add_f64 v[62:63], v[64:65], v[62:63]
	v_fma_f64 v[64:65], s[20:21], v[190:191], v[250:251]
	v_add_f64 v[196:197], v[34:35], v[38:39]
	v_mul_f64 v[252:253], v[142:143], s[40:41]
	v_add_f64 v[64:65], v[64:65], v[60:61]
	v_fma_f64 v[60:61], v[196:197], s[20:21], -v[252:253]
	v_add_f64 v[66:67], v[60:61], v[62:63]
	v_mul_f64 v[60:61], v[104:105], s[28:29]
	v_accvgpr_write_b32 a6, v60
	v_mul_f64 v[62:63], v[106:107], s[38:39]
	v_accvgpr_write_b32 a7, v61
	v_fma_f64 v[60:61], s[18:19], v[132:133], v[60:61]
	v_accvgpr_write_b32 a8, v62
	v_add_f64 v[60:61], v[0:1], v[60:61]
	v_accvgpr_write_b32 a9, v63
	v_fma_f64 v[62:63], s[16:17], v[140:141], v[62:63]
	v_add_f64 v[60:61], v[62:63], v[60:61]
	v_mul_f64 v[62:63], v[108:109], s[28:29]
	v_accvgpr_write_b32 a14, v62
	v_mul_f64 v[68:69], v[110:111], s[38:39]
	v_accvgpr_write_b32 a15, v63
	v_fma_f64 v[62:63], v[134:135], s[18:19], -v[62:63]
	v_accvgpr_write_b32 a16, v68
	v_add_f64 v[62:63], v[2:3], v[62:63]
	v_accvgpr_write_b32 a17, v69
	v_fma_f64 v[68:69], v[144:145], s[16:17], -v[68:69]
	v_add_f64 v[62:63], v[68:69], v[62:63]
	v_mul_f64 v[68:69], v[114:115], s[36:37]
	v_accvgpr_write_b32 a10, v68
	v_accvgpr_write_b32 a11, v69
	v_fma_f64 v[68:69], s[22:23], v[150:151], v[68:69]
	v_add_f64 v[60:61], v[68:69], v[60:61]
	v_mul_f64 v[68:69], v[112:113], s[36:37]
	v_accvgpr_write_b32 a20, v68
	v_accvgpr_write_b32 a21, v69
	v_fma_f64 v[68:69], v[152:153], s[22:23], -v[68:69]
	v_add_f64 v[62:63], v[68:69], v[62:63]
	v_mul_f64 v[68:69], v[118:119], s[40:41]
	v_accvgpr_write_b32 a12, v68
	v_accvgpr_write_b32 a13, v69
	v_fma_f64 v[68:69], s[20:21], v[158:159], v[68:69]
	v_add_f64 v[60:61], v[68:69], v[60:61]
	v_mul_f64 v[68:69], v[116:117], s[40:41]
	v_accvgpr_write_b32 a24, v68
	;; [unrolled: 10-line block ×3, first 2 shown]
	v_accvgpr_write_b32 a29, v69
	v_fma_f64 v[68:69], v[166:167], s[24:25], -v[68:69]
	s_mov_b32 s49, 0x3feec746
	s_mov_b32 s48, s42
	v_add_f64 v[62:63], v[68:69], v[62:63]
	v_mul_f64 v[68:69], v[248:249], s[48:49]
	v_accvgpr_write_b32 a22, v68
	v_accvgpr_write_b32 a23, v69
	v_fma_f64 v[68:69], s[10:11], v[170:171], v[68:69]
	v_add_f64 v[60:61], v[68:69], v[60:61]
	v_mul_f64 v[68:69], v[242:243], s[48:49]
	v_accvgpr_write_b32 a32, v68
	v_accvgpr_write_b32 a33, v69
	v_fma_f64 v[68:69], v[172:173], s[10:11], -v[68:69]
	s_mov_b32 s51, 0x3feca52d
	s_mov_b32 s50, s30
	v_add_f64 v[62:63], v[68:69], v[62:63]
	v_mul_f64 v[68:69], v[122:123], s[50:51]
	v_accvgpr_write_b32 a26, v68
	v_accvgpr_write_b32 a27, v69
	v_fma_f64 v[68:69], s[8:9], v[178:179], v[68:69]
	v_add_f64 v[60:61], v[68:69], v[60:61]
	v_mul_f64 v[68:69], v[254:255], s[50:51]
	v_accvgpr_write_b32 a34, v68
	v_accvgpr_write_b32 a35, v69
	v_fma_f64 v[68:69], v[176:177], s[8:9], -v[68:69]
	s_mov_b32 s53, 0x3fd71e95
	s_mov_b32 s52, s26
	v_add_f64 v[62:63], v[68:69], v[62:63]
	v_mul_f64 v[68:69], v[146:147], s[52:53]
	v_accvgpr_write_b32 a30, v68
	v_accvgpr_write_b32 a31, v69
	v_fma_f64 v[68:69], s[2:3], v[190:191], v[68:69]
	v_add_f64 v[68:69], v[68:69], v[60:61]
	v_mul_f64 v[60:61], v[142:143], s[52:53]
	v_accvgpr_write_b32 a36, v60
	v_accvgpr_write_b32 a37, v61
	v_fma_f64 v[60:61], v[196:197], s[2:3], -v[60:61]
	v_add_f64 v[70:71], v[60:61], v[62:63]
	v_mul_f64 v[60:61], v[104:105], s[30:31]
	v_accvgpr_write_b32 a38, v60
	v_mul_f64 v[62:63], v[106:107], s[36:37]
	v_accvgpr_write_b32 a39, v61
	v_fma_f64 v[60:61], s[8:9], v[132:133], v[60:61]
	v_accvgpr_write_b32 a40, v62
	v_add_f64 v[60:61], v[0:1], v[60:61]
	v_accvgpr_write_b32 a41, v63
	v_fma_f64 v[62:63], s[22:23], v[140:141], v[62:63]
	v_add_f64 v[60:61], v[62:63], v[60:61]
	v_mul_f64 v[62:63], v[108:109], s[30:31]
	v_accvgpr_write_b32 a50, v62
	v_mul_f64 v[72:73], v[110:111], s[36:37]
	v_accvgpr_write_b32 a51, v63
	v_fma_f64 v[62:63], v[134:135], s[8:9], -v[62:63]
	v_accvgpr_write_b32 a54, v72
	v_add_f64 v[62:63], v[2:3], v[62:63]
	v_accvgpr_write_b32 a55, v73
	v_fma_f64 v[72:73], v[144:145], s[22:23], -v[72:73]
	s_mov_b32 s55, 0x3fc7851a
	s_mov_b32 s54, s40
	v_add_f64 v[62:63], v[72:73], v[62:63]
	v_mul_f64 v[72:73], v[114:115], s[54:55]
	v_accvgpr_write_b32 a42, v72
	v_accvgpr_write_b32 a43, v73
	v_fma_f64 v[72:73], s[20:21], v[150:151], v[72:73]
	v_add_f64 v[60:61], v[72:73], v[60:61]
	v_mul_f64 v[72:73], v[112:113], s[54:55]
	v_accvgpr_write_b32 a58, v72
	v_accvgpr_write_b32 a59, v73
	v_fma_f64 v[72:73], v[152:153], s[20:21], -v[72:73]
	v_add_f64 v[62:63], v[72:73], v[62:63]
	v_mul_f64 v[72:73], v[118:119], s[48:49]
	v_accvgpr_write_b32 a44, v72
	v_accvgpr_write_b32 a45, v73
	v_fma_f64 v[72:73], s[10:11], v[158:159], v[72:73]
	v_add_f64 v[60:61], v[72:73], v[60:61]
	v_mul_f64 v[72:73], v[116:117], s[48:49]
	v_accvgpr_write_b32 a60, v72
	v_accvgpr_write_b32 a61, v73
	v_fma_f64 v[72:73], v[160:161], s[10:11], -v[72:73]
	s_mov_b32 s57, 0x3fe58eea
	s_mov_b32 s56, s28
	v_add_f64 v[62:63], v[72:73], v[62:63]
	v_mul_f64 v[72:73], v[232:233], s[56:57]
	v_accvgpr_write_b32 a46, v72
	v_accvgpr_write_b32 a47, v73
	v_fma_f64 v[72:73], s[18:19], v[164:165], v[72:73]
	v_mul_f64 v[124:125], v[224:225], s[56:57]
	v_add_f64 v[60:61], v[72:73], v[60:61]
	v_fma_f64 v[72:73], v[166:167], s[18:19], -v[124:125]
	v_add_f64 v[62:63], v[72:73], v[62:63]
	v_mul_f64 v[72:73], v[248:249], s[26:27]
	v_accvgpr_write_b32 a48, v72
	v_accvgpr_write_b32 a49, v73
	v_fma_f64 v[72:73], s[2:3], v[170:171], v[72:73]
	v_mul_f64 v[126:127], v[242:243], s[26:27]
	v_add_f64 v[60:61], v[72:73], v[60:61]
	v_fma_f64 v[72:73], v[172:173], s[2:3], -v[126:127]
	v_add_f64 v[62:63], v[72:73], v[62:63]
	v_mul_f64 v[72:73], v[122:123], s[38:39]
	v_accvgpr_write_b32 a52, v72
	v_accvgpr_write_b32 a53, v73
	v_fma_f64 v[72:73], s[16:17], v[178:179], v[72:73]
	v_add_f64 v[60:61], v[72:73], v[60:61]
	v_mul_f64 v[72:73], v[254:255], s[38:39]
	v_accvgpr_write_b32 a66, v72
	v_accvgpr_write_b32 a67, v73
	v_fma_f64 v[72:73], v[176:177], s[16:17], -v[72:73]
	v_add_f64 v[62:63], v[72:73], v[62:63]
	v_mul_f64 v[72:73], v[146:147], s[46:47]
	v_accvgpr_write_b32 a56, v72
	v_accvgpr_write_b32 a57, v73
	v_fma_f64 v[72:73], s[24:25], v[190:191], v[72:73]
	v_add_f64 v[72:73], v[72:73], v[60:61]
	v_mul_f64 v[60:61], v[142:143], s[46:47]
	v_accvgpr_write_b32 a69, v61
	v_accvgpr_write_b32 a68, v60
	v_fma_f64 v[60:61], v[196:197], s[24:25], -v[60:61]
	v_add_f64 v[74:75], v[60:61], v[62:63]
	v_mul_f64 v[120:121], v[104:105], s[38:39]
	v_mul_f64 v[62:63], v[106:107], s[40:41]
	v_fma_f64 v[60:61], s[16:17], v[132:133], v[120:121]
	v_accvgpr_write_b32 a77, v63
	v_add_f64 v[60:61], v[0:1], v[60:61]
	v_accvgpr_write_b32 a76, v62
	v_fma_f64 v[62:63], s[20:21], v[140:141], v[62:63]
	v_mul_f64 v[136:137], v[108:109], s[38:39]
	v_add_f64 v[60:61], v[62:63], v[60:61]
	v_fma_f64 v[62:63], v[134:135], s[16:17], -v[136:137]
	v_mul_f64 v[148:149], v[110:111], s[40:41]
	v_add_f64 v[62:63], v[2:3], v[62:63]
	v_fma_f64 v[80:81], v[144:145], s[20:21], -v[148:149]
	v_mul_f64 v[128:129], v[114:115], s[48:49]
	v_add_f64 v[62:63], v[80:81], v[62:63]
	v_fma_f64 v[80:81], s[10:11], v[150:151], v[128:129]
	v_mul_f64 v[156:157], v[112:113], s[48:49]
	v_add_f64 v[60:61], v[80:81], v[60:61]
	v_fma_f64 v[80:81], v[152:153], s[10:11], -v[156:157]
	v_mul_f64 v[130:131], v[118:119], s[52:53]
	v_add_f64 v[62:63], v[80:81], v[62:63]
	v_fma_f64 v[80:81], s[2:3], v[158:159], v[130:131]
	;; [unrolled: 6-line block ×4, first 2 shown]
	v_mul_f64 v[182:183], v[242:243], s[46:47]
	s_mov_b32 s61, 0x3fe9895b
	s_mov_b32 s60, s36
	v_add_f64 v[60:61], v[80:81], v[60:61]
	v_fma_f64 v[80:81], v[172:173], s[24:25], -v[182:183]
	v_mul_f64 v[162:163], v[122:123], s[60:61]
	v_add_f64 v[62:63], v[80:81], v[62:63]
	v_fma_f64 v[80:81], s[22:23], v[178:179], v[162:163]
	v_mul_f64 v[184:185], v[254:255], s[60:61]
	v_add_f64 v[60:61], v[80:81], v[60:61]
	v_fma_f64 v[80:81], v[176:177], s[22:23], -v[184:185]
	v_mul_f64 v[174:175], v[146:147], s[56:57]
	v_add_f64 v[62:63], v[80:81], v[62:63]
	v_fma_f64 v[80:81], s[18:19], v[190:191], v[174:175]
	v_mul_f64 v[186:187], v[142:143], s[56:57]
	;; [unrolled: 6-line block ×3, first 2 shown]
	v_add_f64 v[60:61], v[0:1], v[60:61]
	v_fma_f64 v[62:63], s[24:25], v[140:141], v[192:193]
	v_mul_f64 v[200:201], v[108:109], s[42:43]
	v_add_f64 v[60:61], v[62:63], v[60:61]
	v_fma_f64 v[62:63], v[134:135], s[10:11], -v[200:201]
	v_mul_f64 v[204:205], v[110:111], s[44:45]
	v_add_f64 v[62:63], v[2:3], v[62:63]
	v_fma_f64 v[88:89], v[144:145], s[24:25], -v[204:205]
	v_mul_f64 v[194:195], v[114:115], s[56:57]
	v_add_f64 v[62:63], v[88:89], v[62:63]
	v_fma_f64 v[88:89], s[18:19], v[150:151], v[194:195]
	v_mul_f64 v[90:91], v[112:113], s[56:57]
	v_add_f64 v[60:61], v[88:89], v[60:61]
	v_fma_f64 v[88:89], v[152:153], s[18:19], -v[90:91]
	v_mul_f64 v[198:199], v[118:119], s[30:31]
	v_add_f64 v[62:63], v[88:89], v[62:63]
	v_fma_f64 v[88:89], s[8:9], v[158:159], v[198:199]
	;; [unrolled: 6-line block ×3, first 2 shown]
	v_mul_f64 v[212:213], v[224:225], s[40:41]
	v_add_f64 v[60:61], v[88:89], v[60:61]
	v_fma_f64 v[88:89], v[166:167], s[20:21], -v[212:213]
	s_mov_b32 s59, 0x3fefdd0d
	s_mov_b32 s58, s38
	v_add_f64 v[62:63], v[88:89], v[62:63]
	v_mul_f64 v[88:89], v[248:249], s[58:59]
	v_fma_f64 v[92:93], s[16:17], v[170:171], v[88:89]
	v_mul_f64 v[214:215], v[242:243], s[58:59]
	v_add_f64 v[60:61], v[92:93], v[60:61]
	v_fma_f64 v[92:93], v[172:173], s[16:17], -v[214:215]
	v_mul_f64 v[206:207], v[122:123], s[26:27]
	v_add_f64 v[62:63], v[92:93], v[62:63]
	v_fma_f64 v[92:93], s[2:3], v[178:179], v[206:207]
	v_add_f64 v[60:61], v[92:93], v[60:61]
	v_mul_f64 v[92:93], v[254:255], s[26:27]
	v_fma_f64 v[94:95], v[176:177], s[2:3], -v[92:93]
	v_mul_f64 v[210:211], v[146:147], s[36:37]
	s_load_dwordx2 s[6:7], s[0:1], 0x20
	s_nop 0
	s_load_dwordx2 s[0:1], s[0:1], 0x8
	v_add_f64 v[62:63], v[94:95], v[62:63]
	v_fma_f64 v[94:95], s[22:23], v[190:191], v[210:211]
	v_add_f64 v[60:61], v[94:95], v[60:61]
	v_mul_f64 v[94:95], v[142:143], s[36:37]
	v_fma_f64 v[96:97], v[196:197], s[22:23], -v[94:95]
	v_add_f64 v[62:63], v[96:97], v[62:63]
	s_waitcnt lgkmcnt(0)
	s_barrier
	s_and_saveexec_b64 s[34:35], s[4:5]
	s_cbranch_execz .LBB0_7
; %bb.6:
	v_mul_f64 v[96:97], v[134:135], s[20:21]
	v_accvgpr_write_b32 a70, v98
	v_accvgpr_write_b32 a78, v100
	;; [unrolled: 1-line block ×3, first 2 shown]
	v_fma_f64 v[98:99], s[54:55], v[108:109], v[96:97]
	v_accvgpr_write_b32 a79, v101
	v_mul_f64 v[100:101], v[144:145], s[2:3]
	v_accvgpr_write_b32 a72, v102
	v_add_f64 v[98:99], v[2:3], v[98:99]
	v_accvgpr_write_b32 a73, v103
	v_fma_f64 v[102:103], s[26:27], v[110:111], v[100:101]
	v_add_f64 v[98:99], v[102:103], v[98:99]
	v_mul_f64 v[102:103], v[152:153], s[24:25]
	v_accvgpr_write_b32 a3, v216
	v_fma_f64 v[216:217], s[44:45], v[112:113], v[102:103]
	v_add_f64 v[98:99], v[216:217], v[98:99]
	v_mul_f64 v[216:217], v[160:161], s[18:19]
	v_accvgpr_write_b32 a86, v218
	v_accvgpr_write_b32 a87, v219
	v_fma_f64 v[218:219], s[28:29], v[116:117], v[216:217]
	v_add_f64 v[98:99], v[218:219], v[98:99]
	v_mul_f64 v[218:219], v[166:167], s[22:23]
	v_accvgpr_write_b32 a74, v220
	;; [unrolled: 5-line block ×5, first 2 shown]
	v_accvgpr_write_b32 a0, v228
	v_fma_f64 v[228:229], s[20:21], v[132:133], v[226:227]
	v_accvgpr_write_b32 a97, v231
	v_mul_f64 v[230:231], v[106:107], s[52:53]
	v_accvgpr_write_b32 a90, v234
	v_add_f64 v[228:229], v[0:1], v[228:229]
	v_accvgpr_write_b32 a91, v235
	v_fma_f64 v[234:235], s[2:3], v[140:141], v[230:231]
	v_add_f64 v[228:229], v[234:235], v[228:229]
	v_mul_f64 v[234:235], v[114:115], s[46:47]
	v_accvgpr_write_b32 a98, v236
	v_accvgpr_write_b32 a99, v237
	v_fma_f64 v[236:237], s[24:25], v[150:151], v[234:235]
	v_add_f64 v[228:229], v[236:237], v[228:229]
	v_mul_f64 v[236:237], v[118:119], s[56:57]
	v_accvgpr_write_b32 a92, v238
	v_accvgpr_write_b32 a93, v239
	v_fma_f64 v[238:239], s[18:19], v[158:159], v[236:237]
	v_fmac_f64_e32 v[96:97], s[40:41], v[108:109]
	v_add_f64 v[228:229], v[238:239], v[228:229]
	v_mul_f64 v[238:239], v[232:233], s[36:37]
	v_accvgpr_write_b32 a102, v240
	v_fmac_f64_e32 v[100:101], s[52:53], v[110:111]
	v_add_f64 v[96:97], v[2:3], v[96:97]
	v_accvgpr_write_b32 a103, v241
	v_fma_f64 v[240:241], s[22:23], v[164:165], v[238:239]
	v_add_f64 v[96:97], v[100:101], v[96:97]
	v_fmac_f64_e32 v[102:103], s[46:47], v[112:113]
	v_add_f64 v[228:229], v[240:241], v[228:229]
	v_mul_f64 v[240:241], v[248:249], s[50:51]
	v_accvgpr_write_b32 a94, v244
	v_add_f64 v[96:97], v[102:103], v[96:97]
	v_fma_f64 v[102:103], v[132:133], s[20:21], -v[226:227]
	v_accvgpr_write_b32 a95, v245
	v_fma_f64 v[244:245], s[8:9], v[170:171], v[240:241]
	v_fma_f64 v[100:101], v[140:141], s[2:3], -v[230:231]
	v_add_f64 v[102:103], v[0:1], v[102:103]
	v_add_f64 v[228:229], v[244:245], v[228:229]
	v_mul_f64 v[244:245], v[122:123], s[42:43]
	v_accvgpr_write_b32 a104, v246
	v_fmac_f64_e32 v[216:217], s[56:57], v[116:117]
	v_add_f64 v[100:101], v[100:101], v[102:103]
	v_fma_f64 v[102:103], v[150:151], s[24:25], -v[234:235]
	v_accvgpr_write_b32 a105, v247
	v_fma_f64 v[246:247], s[10:11], v[178:179], v[244:245]
	v_add_f64 v[96:97], v[216:217], v[96:97]
	v_fmac_f64_e32 v[218:219], s[36:37], v[224:225]
	v_add_f64 v[100:101], v[102:103], v[100:101]
	v_fma_f64 v[102:103], v[158:159], s[18:19], -v[236:237]
	v_add_f64 v[228:229], v[246:247], v[228:229]
	v_mul_f64 v[246:247], v[196:197], s[16:17]
	v_accvgpr_write_b32 a100, v250
	v_add_f64 v[96:97], v[218:219], v[96:97]
	v_fmac_f64_e32 v[220:221], s[50:51], v[242:243]
	v_add_f64 v[100:101], v[102:103], v[100:101]
	v_fma_f64 v[102:103], v[164:165], s[22:23], -v[238:239]
	v_accvgpr_write_b32 a101, v251
	v_fma_f64 v[250:251], s[38:39], v[142:143], v[246:247]
	v_accvgpr_write_b32 a108, v126
	v_add_f64 v[96:97], v[220:221], v[96:97]
	v_fmac_f64_e32 v[222:223], s[42:43], v[254:255]
	v_add_f64 v[100:101], v[102:103], v[100:101]
	v_fma_f64 v[102:103], v[170:171], s[8:9], -v[240:241]
	v_accvgpr_write_b32 a109, v127
	v_add_f64 v[126:127], v[250:251], v[98:99]
	v_mul_f64 v[98:99], v[146:147], s[58:59]
	v_add_f64 v[96:97], v[222:223], v[96:97]
	v_add_f64 v[100:101], v[102:103], v[100:101]
	v_fma_f64 v[102:103], v[178:179], s[10:11], -v[244:245]
	v_fmac_f64_e32 v[246:247], s[58:59], v[142:143]
	v_add_f64 v[100:101], v[102:103], v[100:101]
	v_add_f64 v[102:103], v[246:247], v[96:97]
	v_fma_f64 v[96:97], v[190:191], s[16:17], -v[98:99]
	v_add_f64 v[100:101], v[96:97], v[100:101]
	v_accvgpr_write_b32 a82, v100
	v_accvgpr_write_b32 a83, v101
	;; [unrolled: 1-line block ×4, first 2 shown]
	v_mul_f64 v[100:101], v[134:135], s[24:25]
	v_fma_f64 v[96:97], s[44:45], v[108:109], v[100:101]
	v_mul_f64 v[102:103], v[144:145], s[8:9]
	v_fma_f64 v[250:251], s[16:17], v[190:191], v[98:99]
	v_add_f64 v[96:97], v[2:3], v[96:97]
	v_fma_f64 v[98:99], s[30:31], v[110:111], v[102:103]
	v_mul_f64 v[216:217], v[152:153], s[16:17]
	v_add_f64 v[96:97], v[98:99], v[96:97]
	v_fma_f64 v[98:99], s[58:59], v[112:113], v[216:217]
	v_mul_f64 v[218:219], v[160:161], s[22:23]
	;; [unrolled: 3-line block ×4, first 2 shown]
	v_accvgpr_write_b32 a110, v124
	v_add_f64 v[96:97], v[98:99], v[96:97]
	v_fma_f64 v[98:99], s[54:55], v[242:243], v[222:223]
	v_mul_f64 v[226:227], v[176:177], s[18:19]
	v_accvgpr_write_b32 a111, v125
	v_add_f64 v[124:125], v[250:251], v[228:229]
	v_add_f64 v[96:97], v[98:99], v[96:97]
	v_fma_f64 v[98:99], s[28:29], v[254:255], v[226:227]
	v_mul_f64 v[228:229], v[104:105], s[46:47]
	v_add_f64 v[96:97], v[98:99], v[96:97]
	v_fma_f64 v[98:99], s[24:25], v[132:133], v[228:229]
	v_mul_f64 v[230:231], v[106:107], s[50:51]
	v_add_f64 v[98:99], v[0:1], v[98:99]
	v_fma_f64 v[234:235], s[8:9], v[140:141], v[230:231]
	v_add_f64 v[98:99], v[234:235], v[98:99]
	v_mul_f64 v[234:235], v[114:115], s[38:39]
	v_fma_f64 v[236:237], s[16:17], v[150:151], v[234:235]
	v_fmac_f64_e32 v[100:101], s[46:47], v[108:109]
	v_add_f64 v[98:99], v[236:237], v[98:99]
	v_mul_f64 v[236:237], v[118:119], s[60:61]
	v_fmac_f64_e32 v[102:103], s[50:51], v[110:111]
	v_add_f64 v[100:101], v[2:3], v[100:101]
	v_fma_f64 v[238:239], s[22:23], v[158:159], v[236:237]
	v_add_f64 v[100:101], v[102:103], v[100:101]
	v_fmac_f64_e32 v[216:217], s[38:39], v[112:113]
	v_add_f64 v[98:99], v[238:239], v[98:99]
	v_mul_f64 v[238:239], v[232:233], s[26:27]
	v_add_f64 v[100:101], v[216:217], v[100:101]
	v_fma_f64 v[216:217], v[132:133], s[24:25], -v[228:229]
	v_fma_f64 v[240:241], s[2:3], v[164:165], v[238:239]
	v_fma_f64 v[102:103], v[140:141], s[8:9], -v[230:231]
	v_add_f64 v[216:217], v[0:1], v[216:217]
	v_add_f64 v[98:99], v[240:241], v[98:99]
	v_mul_f64 v[240:241], v[248:249], s[40:41]
	v_fmac_f64_e32 v[218:219], s[60:61], v[116:117]
	v_add_f64 v[102:103], v[102:103], v[216:217]
	v_fma_f64 v[216:217], v[150:151], s[16:17], -v[234:235]
	v_fma_f64 v[244:245], s[20:21], v[170:171], v[240:241]
	v_add_f64 v[100:101], v[218:219], v[100:101]
	v_fmac_f64_e32 v[220:221], s[26:27], v[224:225]
	v_add_f64 v[102:103], v[216:217], v[102:103]
	v_fma_f64 v[216:217], v[158:159], s[22:23], -v[236:237]
	v_add_f64 v[98:99], v[244:245], v[98:99]
	v_mul_f64 v[244:245], v[122:123], s[56:57]
	v_add_f64 v[100:101], v[220:221], v[100:101]
	v_fmac_f64_e32 v[222:223], s[40:41], v[242:243]
	v_add_f64 v[102:103], v[216:217], v[102:103]
	v_fma_f64 v[216:217], v[164:165], s[2:3], -v[238:239]
	v_fma_f64 v[246:247], s[18:19], v[178:179], v[244:245]
	v_mul_f64 v[250:251], v[196:197], s[10:11]
	v_accvgpr_write_b32 a106, v252
	v_add_f64 v[100:101], v[222:223], v[100:101]
	v_fmac_f64_e32 v[226:227], s[56:57], v[254:255]
	v_add_f64 v[102:103], v[216:217], v[102:103]
	v_fma_f64 v[216:217], v[170:171], s[20:21], -v[240:241]
	v_add_f64 v[246:247], v[246:247], v[98:99]
	v_fma_f64 v[98:99], s[48:49], v[142:143], v[250:251]
	v_accvgpr_write_b32 a107, v253
	v_mul_f64 v[252:253], v[146:147], s[42:43]
	v_add_f64 v[100:101], v[226:227], v[100:101]
	v_add_f64 v[102:103], v[216:217], v[102:103]
	v_fma_f64 v[216:217], v[178:179], s[18:19], -v[244:245]
	v_fmac_f64_e32 v[250:251], s[42:43], v[142:143]
	v_add_f64 v[216:217], v[216:217], v[102:103]
	v_add_f64 v[102:103], v[250:251], v[100:101]
	v_fma_f64 v[100:101], v[190:191], s[10:11], -v[252:253]
	v_add_f64 v[100:101], v[100:101], v[216:217]
	v_mul_f64 v[216:217], v[134:135], s[22:23]
	v_fma_f64 v[218:219], s[60:61], v[108:109], v[216:217]
	v_mul_f64 v[220:221], v[144:145], s[10:11]
	v_add_f64 v[218:219], v[2:3], v[218:219]
	v_fma_f64 v[222:223], s[42:43], v[110:111], v[220:221]
	v_add_f64 v[218:219], v[222:223], v[218:219]
	v_mul_f64 v[222:223], v[152:153], s[2:3]
	v_fma_f64 v[226:227], s[52:53], v[112:113], v[222:223]
	v_add_f64 v[218:219], v[226:227], v[218:219]
	v_mul_f64 v[226:227], v[160:161], s[24:25]
	;; [unrolled: 3-line block ×5, first 2 shown]
	v_fma_f64 v[236:237], s[54:55], v[254:255], v[234:235]
	v_mul_f64 v[238:239], v[104:105], s[36:37]
	v_add_f64 v[218:219], v[236:237], v[218:219]
	v_mul_f64 v[236:237], v[106:107], s[48:49]
	v_fma_f64 v[104:105], s[22:23], v[132:133], v[238:239]
	v_fmac_f64_e32 v[222:223], s[26:27], v[112:113]
	v_fma_f64 v[112:113], v[132:133], s[22:23], -v[238:239]
	v_add_f64 v[104:105], v[0:1], v[104:105]
	v_fma_f64 v[106:107], s[10:11], v[140:141], v[236:237]
	v_mul_f64 v[114:115], v[114:115], s[26:27]
	v_fmac_f64_e32 v[220:221], s[48:49], v[110:111]
	v_fma_f64 v[110:111], v[140:141], s[10:11], -v[236:237]
	v_add_f64 v[112:113], v[0:1], v[112:113]
	v_add_f64 v[104:105], v[106:107], v[104:105]
	v_fma_f64 v[106:107], s[2:3], v[150:151], v[114:115]
	v_mul_f64 v[118:119], v[118:119], s[46:47]
	v_add_f64 v[110:111], v[110:111], v[112:113]
	v_fma_f64 v[112:113], v[150:151], s[2:3], -v[114:115]
	v_add_f64 v[104:105], v[106:107], v[104:105]
	v_fma_f64 v[106:107], s[24:25], v[158:159], v[118:119]
	v_mul_f64 v[232:233], v[232:233], s[58:59]
	v_add_f64 v[110:111], v[112:113], v[110:111]
	v_fma_f64 v[112:113], v[158:159], s[24:25], -v[118:119]
	v_add_f64 v[104:105], v[106:107], v[104:105]
	v_fma_f64 v[106:107], s[16:17], v[164:165], v[232:233]
	v_mul_f64 v[240:241], v[248:249], s[28:29]
	v_add_f64 v[110:111], v[112:113], v[110:111]
	v_fma_f64 v[112:113], v[164:165], s[16:17], -v[232:233]
	v_add_f64 v[104:105], v[106:107], v[104:105]
	v_fma_f64 v[106:107], s[18:19], v[170:171], v[240:241]
	v_mul_f64 v[122:123], v[122:123], s[40:41]
	v_add_f64 v[110:111], v[112:113], v[110:111]
	v_fma_f64 v[112:113], v[170:171], s[18:19], -v[240:241]
	v_add_f64 v[104:105], v[106:107], v[104:105]
	v_fma_f64 v[106:107], s[20:21], v[178:179], v[122:123]
	v_fmac_f64_e32 v[216:217], s[36:37], v[108:109]
	v_add_f64 v[110:111], v[112:113], v[110:111]
	v_fma_f64 v[112:113], v[178:179], s[20:21], -v[122:123]
	v_mul_f64 v[118:119], v[152:153], s[18:19]
	v_mul_f64 v[122:123], v[134:135], s[10:11]
	;; [unrolled: 1-line block ×3, first 2 shown]
	v_add_f64 v[108:109], v[2:3], v[216:217]
	v_add_f64 v[90:91], v[90:91], v[118:119]
	v_mul_f64 v[118:119], v[144:145], s[24:25]
	v_add_f64 v[122:123], v[200:201], v[122:123]
	v_add_f64 v[104:105], v[106:107], v[104:105]
	v_fma_f64 v[106:107], s[30:31], v[142:143], v[244:245]
	v_fmac_f64_e32 v[244:245], s[50:51], v[142:143]
	v_add_f64 v[108:109], v[220:221], v[108:109]
	v_add_f64 v[118:119], v[204:205], v[118:119]
	;; [unrolled: 1-line block ×3, first 2 shown]
	v_mul_f64 v[142:143], v[132:133], s[10:11]
	v_fmac_f64_e32 v[226:227], s[46:47], v[116:117]
	v_add_f64 v[108:109], v[222:223], v[108:109]
	v_mul_f64 v[116:117], v[160:161], s[8:9]
	v_add_f64 v[118:119], v[118:119], v[122:123]
	v_mul_f64 v[122:123], v[140:141], s[24:25]
	v_add_f64 v[142:143], v[142:143], -v[188:189]
	v_fmac_f64_e32 v[228:229], s[58:59], v[224:225]
	v_add_f64 v[108:109], v[226:227], v[108:109]
	v_add_f64 v[116:117], v[208:209], v[116:117]
	;; [unrolled: 1-line block ×3, first 2 shown]
	v_mul_f64 v[118:119], v[150:151], s[18:19]
	v_add_f64 v[122:123], v[122:123], -v[192:193]
	v_add_f64 v[142:143], v[0:1], v[142:143]
	v_fmac_f64_e32 v[230:231], s[28:29], v[242:243]
	v_add_f64 v[108:109], v[228:229], v[108:109]
	v_add_f64 v[90:91], v[116:117], v[90:91]
	v_mul_f64 v[116:117], v[158:159], s[8:9]
	v_add_f64 v[118:119], v[118:119], -v[194:195]
	v_add_f64 v[122:123], v[122:123], v[142:143]
	v_mul_f64 v[142:143], v[134:135], s[16:17]
	v_fmac_f64_e32 v[234:235], s[40:41], v[254:255]
	v_add_f64 v[108:109], v[230:231], v[108:109]
	v_add_f64 v[116:117], v[116:117], -v[198:199]
	v_add_f64 v[118:119], v[118:119], v[122:123]
	v_mul_f64 v[122:123], v[144:145], s[20:21]
	v_add_f64 v[136:137], v[136:137], v[142:143]
	v_mul_f64 v[146:147], v[146:147], s[50:51]
	v_add_f64 v[108:109], v[234:235], v[108:109]
	v_add_f64 v[116:117], v[116:117], v[118:119]
	v_mul_f64 v[118:119], v[152:153], s[10:11]
	v_add_f64 v[122:123], v[148:149], v[122:123]
	v_add_f64 v[136:137], v[2:3], v[136:137]
	;; [unrolled: 1-line block ×4, first 2 shown]
	v_fma_f64 v[108:109], v[190:191], s[8:9], -v[146:147]
	v_mul_f64 v[114:115], v[166:167], s[20:21]
	v_add_f64 v[118:119], v[156:157], v[118:119]
	v_add_f64 v[122:123], v[122:123], v[136:137]
	v_accvgpr_write_b32 a62, v124
	v_add_f64 v[108:109], v[108:109], v[112:113]
	v_mul_f64 v[112:113], v[196:197], s[22:23]
	v_add_f64 v[114:115], v[212:213], v[114:115]
	v_add_f64 v[118:119], v[118:119], v[122:123]
	v_mul_f64 v[122:123], v[158:159], s[2:3]
	v_accvgpr_write_b32 a63, v125
	v_accvgpr_write_b32 a64, v126
	;; [unrolled: 1-line block ×3, first 2 shown]
	v_add_f64 v[94:95], v[94:95], v[112:113]
	v_mul_f64 v[112:113], v[176:177], s[2:3]
	v_add_f64 v[90:91], v[114:115], v[90:91]
	v_mul_f64 v[114:115], v[170:171], s[16:17]
	v_add_f64 v[122:123], v[122:123], -v[130:131]
	v_mul_f64 v[130:131], v[150:151], s[10:11]
	v_accvgpr_read_b32 v125, a77
	v_add_f64 v[92:93], v[92:93], v[112:113]
	v_mul_f64 v[112:113], v[172:173], s[16:17]
	v_add_f64 v[88:89], v[114:115], -v[88:89]
	v_mul_f64 v[114:115], v[164:165], s[20:21]
	v_add_f64 v[128:129], v[130:131], -v[128:129]
	v_mul_f64 v[130:131], v[140:141], s[20:21]
	v_accvgpr_read_b32 v124, a76
	v_add_f64 v[112:113], v[214:215], v[112:113]
	v_add_f64 v[114:115], v[114:115], -v[202:203]
	v_add_f64 v[126:127], v[130:131], -v[124:125]
	v_mul_f64 v[130:131], v[132:133], s[16:17]
	v_add_f64 v[90:91], v[112:113], v[90:91]
	v_mul_f64 v[112:113], v[178:179], s[2:3]
	v_add_f64 v[114:115], v[114:115], v[116:117]
	v_add_f64 v[124:125], v[130:131], -v[120:121]
	v_add_f64 v[90:91], v[92:93], v[90:91]
	v_mul_f64 v[92:93], v[190:191], s[22:23]
	v_add_f64 v[112:113], v[112:113], -v[206:207]
	v_add_f64 v[88:89], v[88:89], v[114:115]
	v_mul_f64 v[116:117], v[160:161], s[2:3]
	v_add_f64 v[124:125], v[0:1], v[124:125]
	v_add_f64 v[92:93], v[92:93], -v[210:211]
	v_add_f64 v[88:89], v[112:113], v[88:89]
	v_add_f64 v[114:115], v[94:95], v[90:91]
	v_mul_f64 v[94:95], v[166:167], s[8:9]
	v_add_f64 v[116:117], v[168:169], v[116:117]
	v_add_f64 v[124:125], v[126:127], v[124:125]
	;; [unrolled: 1-line block ×3, first 2 shown]
	v_mul_f64 v[92:93], v[172:173], s[24:25]
	v_add_f64 v[94:95], v[180:181], v[94:95]
	v_add_f64 v[116:117], v[116:117], v[118:119]
	v_mul_f64 v[118:119], v[164:165], s[8:9]
	v_add_f64 v[124:125], v[128:129], v[124:125]
	v_mul_f64 v[90:91], v[176:177], s[22:23]
	v_add_f64 v[92:93], v[182:183], v[92:93]
	v_add_f64 v[94:95], v[94:95], v[116:117]
	v_mul_f64 v[116:117], v[170:171], s[24:25]
	v_add_f64 v[118:119], v[118:119], -v[138:139]
	v_add_f64 v[122:123], v[122:123], v[124:125]
	v_mul_f64 v[88:89], v[196:197], s[18:19]
	v_add_f64 v[90:91], v[184:185], v[90:91]
	v_add_f64 v[92:93], v[92:93], v[94:95]
	v_mul_f64 v[94:95], v[178:179], s[22:23]
	v_add_f64 v[116:117], v[116:117], -v[154:155]
	v_add_f64 v[118:119], v[118:119], v[122:123]
	v_add_f64 v[88:89], v[186:187], v[88:89]
	;; [unrolled: 1-line block ×3, first 2 shown]
	v_mul_f64 v[92:93], v[190:191], s[18:19]
	v_add_f64 v[94:95], v[94:95], -v[162:163]
	v_add_f64 v[116:117], v[116:117], v[118:119]
	v_add_f64 v[92:93], v[92:93], -v[174:175]
	v_add_f64 v[94:95], v[94:95], v[116:117]
	v_add_f64 v[118:119], v[88:89], v[90:91]
	v_accvgpr_read_b32 v91, a69
	v_add_f64 v[116:117], v[92:93], v[94:95]
	v_mul_f64 v[88:89], v[196:197], s[24:25]
	v_accvgpr_read_b32 v90, a68
	v_accvgpr_read_b32 v93, a67
	v_add_f64 v[88:89], v[90:91], v[88:89]
	v_mul_f64 v[90:91], v[176:177], s[16:17]
	v_accvgpr_read_b32 v92, a66
	;; [unrolled: 4-line block ×8, first 2 shown]
	v_add_f64 v[126:127], v[128:129], v[126:127]
	v_add_f64 v[126:127], v[2:3], v[126:127]
	;; [unrolled: 1-line block ×7, first 2 shown]
	v_accvgpr_read_b32 v95, a57
	v_mul_f64 v[124:125], v[134:135], s[2:3]
	v_mul_f64 v[128:129], v[134:135], s[18:19]
	v_add_f64 v[90:91], v[90:91], v[92:93]
	v_mul_f64 v[92:93], v[190:191], s[24:25]
	v_accvgpr_read_b32 v94, a56
	v_accvgpr_read_b32 v135, a53
	v_add_f64 v[92:93], v[92:93], -v[94:95]
	v_mul_f64 v[94:95], v[178:179], s[16:17]
	v_accvgpr_read_b32 v134, a52
	v_accvgpr_read_b32 v137, a49
	v_add_f64 v[94:95], v[94:95], -v[134:135]
	;; [unrolled: 4-line block ×3, first 2 shown]
	v_mul_f64 v[136:137], v[164:165], s[18:19]
	v_accvgpr_read_b32 v138, a46
	v_accvgpr_read_b32 v143, a45
	v_add_f64 v[106:107], v[106:107], v[218:219]
	v_fma_f64 v[218:219], s[8:9], v[190:191], v[146:147]
	v_add_f64 v[136:137], v[136:137], -v[138:139]
	v_mul_f64 v[138:139], v[158:159], s[10:11]
	v_accvgpr_read_b32 v142, a44
	v_accvgpr_read_b32 v147, a43
	;; [unrolled: 1-line block ×3, first 2 shown]
	v_mul_f64 v[130:131], v[132:133], s[8:9]
	v_add_f64 v[138:139], v[138:139], -v[142:143]
	v_mul_f64 v[142:143], v[150:151], s[20:21]
	v_accvgpr_read_b32 v146, a42
	v_accvgpr_read_b32 v149, a41
	;; [unrolled: 1-line block ×3, first 2 shown]
	v_mul_f64 v[120:121], v[140:141], s[18:19]
	v_add_f64 v[142:143], v[142:143], -v[146:147]
	v_mul_f64 v[146:147], v[140:141], s[16:17]
	v_mul_f64 v[140:141], v[140:141], s[22:23]
	v_accvgpr_read_b32 v148, a40
	v_add_f64 v[130:131], v[130:131], -v[154:155]
	v_add_f64 v[140:141], v[140:141], -v[148:149]
	v_add_f64 v[130:131], v[0:1], v[130:131]
	v_add_f64 v[130:131], v[140:141], v[130:131]
	;; [unrolled: 1-line block ×4, first 2 shown]
	v_accvgpr_read_b32 v181, a33
	v_add_f64 v[130:131], v[136:137], v[130:131]
	v_mul_f64 v[136:137], v[166:167], s[10:11]
	v_mul_f64 v[162:163], v[166:167], s[24:25]
	;; [unrolled: 1-line block ×3, first 2 shown]
	v_accvgpr_read_b32 v180, a32
	v_add_f64 v[166:167], v[180:181], v[166:167]
	v_accvgpr_read_b32 v181, a29
	v_accvgpr_read_b32 v180, a28
	v_add_f64 v[162:163], v[180:181], v[162:163]
	v_accvgpr_read_b32 v181, a25
	v_mul_f64 v[140:141], v[158:159], s[16:17]
	v_mul_f64 v[156:157], v[158:159], s[20:21]
	;; [unrolled: 1-line block ×3, first 2 shown]
	v_accvgpr_read_b32 v180, a24
	v_add_f64 v[158:159], v[180:181], v[158:159]
	v_accvgpr_read_b32 v181, a21
	v_mul_f64 v[154:155], v[152:153], s[8:9]
	v_mul_f64 v[152:153], v[152:153], s[22:23]
	v_accvgpr_read_b32 v180, a20
	v_add_f64 v[152:153], v[180:181], v[152:153]
	v_accvgpr_read_b32 v181, a17
	v_mul_f64 v[126:127], v[132:133], s[2:3]
	v_mul_f64 v[122:123], v[132:133], s[18:19]
	;; [unrolled: 1-line block ×4, first 2 shown]
	v_accvgpr_read_b32 v180, a16
	v_add_f64 v[144:145], v[180:181], v[144:145]
	v_accvgpr_read_b32 v181, a15
	v_accvgpr_read_b32 v180, a14
	v_add_f64 v[128:129], v[180:181], v[128:129]
	v_add_f64 v[128:129], v[2:3], v[128:129]
	;; [unrolled: 1-line block ×5, first 2 shown]
	v_accvgpr_read_b32 v159, a13
	v_accvgpr_read_b32 v158, a12
	v_add_f64 v[156:157], v[156:157], -v[158:159]
	v_accvgpr_read_b32 v159, a11
	v_mul_f64 v[148:149], v[150:151], s[8:9]
	v_mul_f64 v[150:151], v[150:151], s[22:23]
	v_accvgpr_read_b32 v158, a10
	v_add_f64 v[150:151], v[150:151], -v[158:159]
	v_accvgpr_read_b32 v159, a9
	v_accvgpr_read_b32 v158, a8
	v_add_f64 v[146:147], v[146:147], -v[158:159]
	v_accvgpr_read_b32 v159, a7
	v_accvgpr_read_b32 v158, a6
	v_add_f64 v[122:123], v[122:123], -v[158:159]
	v_add_f64 v[122:123], v[0:1], v[122:123]
	v_add_f64 v[122:123], v[146:147], v[122:123]
	v_accvgpr_read_b32 v147, a87
	v_accvgpr_read_b32 v146, a86
	v_add_f64 v[132:133], v[146:147], v[132:133]
	v_accvgpr_read_b32 v147, a79
	v_accvgpr_read_b32 v146, a78
	;; [unrolled: 1-line block ×3, first 2 shown]
	v_add_f64 v[124:125], v[146:147], v[124:125]
	v_mul_f64 v[142:143], v[160:161], s[16:17]
	v_mul_f64 v[160:161], v[164:165], s[24:25]
	v_accvgpr_read_b32 v145, a23
	v_accvgpr_read_b32 v152, a18
	v_add_f64 v[122:123], v[150:151], v[122:123]
	v_add_f64 v[124:125], v[2:3], v[124:125]
	v_mul_f64 v[138:139], v[164:165], s[10:11]
	v_mul_f64 v[164:165], v[170:171], s[10:11]
	v_accvgpr_read_b32 v144, a22
	v_add_f64 v[152:153], v[160:161], -v[152:153]
	v_add_f64 v[122:123], v[156:157], v[122:123]
	v_add_f64 v[124:125], v[132:133], v[124:125]
	v_accvgpr_read_b32 v133, a91
	v_add_f64 v[144:145], v[164:165], -v[144:145]
	v_add_f64 v[122:123], v[152:153], v[122:123]
	v_accvgpr_read_b32 v132, a90
	v_add_f64 v[130:131], v[134:135], v[130:131]
	v_add_f64 v[122:123], v[144:145], v[122:123]
	v_accvgpr_read_b32 v145, a103
	v_add_f64 v[132:133], v[138:139], -v[132:133]
	v_accvgpr_read_b32 v139, a73
	v_add_f64 v[94:95], v[94:95], v[130:131]
	v_mul_f64 v[130:131], v[172:173], s[22:23]
	v_accvgpr_read_b32 v144, a102
	v_accvgpr_read_b32 v138, a72
	v_add_f64 v[130:131], v[144:145], v[130:131]
	v_accvgpr_read_b32 v145, a99
	v_add_f64 v[120:121], v[120:121], -v[138:139]
	v_accvgpr_read_b32 v139, a71
	v_accvgpr_read_b32 v144, a98
	;; [unrolled: 1-line block ×3, first 2 shown]
	v_add_f64 v[136:137], v[144:145], v[136:137]
	v_accvgpr_read_b32 v145, a97
	v_add_f64 v[126:127], v[126:127], -v[138:139]
	v_accvgpr_read_b32 v144, a96
	v_add_f64 v[126:127], v[0:1], v[126:127]
	v_add_f64 v[2:3], v[2:3], v[6:7]
	;; [unrolled: 1-line block ×4, first 2 shown]
	v_accvgpr_read_b32 v145, a89
	v_add_f64 v[2:3], v[2:3], v[10:11]
	v_add_f64 v[0:1], v[0:1], v[8:9]
	;; [unrolled: 1-line block ×4, first 2 shown]
	v_accvgpr_read_b32 v95, a37
	v_accvgpr_read_b32 v144, a88
	v_add_f64 v[2:3], v[2:3], v[14:15]
	v_add_f64 v[0:1], v[0:1], v[12:13]
	v_mul_f64 v[92:93], v[196:197], s[2:3]
	v_accvgpr_read_b32 v94, a36
	v_accvgpr_read_b32 v175, a35
	v_add_f64 v[144:145], v[144:145], v[154:155]
	v_add_f64 v[2:3], v[2:3], v[18:19]
	;; [unrolled: 1-line block ×4, first 2 shown]
	v_mul_f64 v[94:95], v[176:177], s[8:9]
	v_accvgpr_read_b32 v174, a34
	v_add_f64 v[128:129], v[162:163], v[128:129]
	v_add_f64 v[124:125], v[144:145], v[124:125]
	;; [unrolled: 1-line block ×10, first 2 shown]
	v_accvgpr_read_b32 v129, a27
	v_add_f64 v[124:125], v[136:137], v[124:125]
	v_add_f64 v[2:3], v[2:3], v[30:31]
	;; [unrolled: 1-line block ×3, first 2 shown]
	v_mul_f64 v[172:173], v[178:179], s[8:9]
	v_add_f64 v[94:95], v[92:93], v[94:95]
	v_accvgpr_read_b32 v93, a31
	v_accvgpr_read_b32 v128, a26
	v_add_f64 v[124:125], v[130:131], v[124:125]
	v_accvgpr_read_b32 v131, a93
	v_add_f64 v[2:3], v[2:3], v[34:35]
	v_add_f64 v[0:1], v[0:1], v[32:33]
	v_mul_f64 v[134:135], v[170:171], s[22:23]
	v_mul_f64 v[168:169], v[178:179], s[24:25]
	;; [unrolled: 1-line block ×3, first 2 shown]
	v_accvgpr_read_b32 v92, a30
	v_add_f64 v[128:129], v[172:173], -v[128:129]
	v_accvgpr_read_b32 v130, a92
	v_accvgpr_read_b32 v137, a75
	v_add_f64 v[2:3], v[2:3], v[38:39]
	v_add_f64 v[0:1], v[0:1], v[36:37]
	v_add_f64 v[92:93], v[178:179], -v[92:93]
	v_add_f64 v[122:123], v[128:129], v[122:123]
	v_accvgpr_read_b32 v129, a105
	v_add_f64 v[130:131], v[134:135], -v[130:131]
	v_accvgpr_read_b32 v135, a81
	v_accvgpr_read_b32 v136, a74
	v_add_f64 v[2:3], v[2:3], v[42:43]
	v_add_f64 v[0:1], v[0:1], v[40:41]
	v_mul_f64 v[170:171], v[176:177], s[24:25]
	v_add_f64 v[92:93], v[92:93], v[122:123]
	v_accvgpr_read_b32 v123, a107
	v_accvgpr_read_b32 v128, a104
	;; [unrolled: 1-line block ×3, first 2 shown]
	v_add_f64 v[136:137], v[148:149], -v[136:137]
	v_add_f64 v[120:121], v[120:121], v[126:127]
	v_add_f64 v[2:3], v[2:3], v[46:47]
	;; [unrolled: 1-line block ×3, first 2 shown]
	v_mul_f64 v[176:177], v[196:197], s[20:21]
	v_accvgpr_read_b32 v122, a106
	v_add_f64 v[128:129], v[128:129], v[170:171]
	v_add_f64 v[134:135], v[140:141], -v[134:135]
	v_add_f64 v[120:121], v[136:137], v[120:121]
	v_add_f64 v[2:3], v[2:3], v[50:51]
	;; [unrolled: 1-line block ×5, first 2 shown]
	v_accvgpr_read_b32 v129, a95
	v_add_f64 v[120:121], v[134:135], v[120:121]
	v_add_f64 v[2:3], v[2:3], v[54:55]
	v_add_f64 v[0:1], v[0:1], v[52:53]
	v_add_f64 v[122:123], v[122:123], v[124:125]
	v_accvgpr_read_b32 v125, a101
	v_accvgpr_read_b32 v128, a94
	v_add_f64 v[120:121], v[132:133], v[120:121]
	v_add_f64 v[2:3], v[2:3], v[58:59]
	;; [unrolled: 1-line block ×3, first 2 shown]
	v_accvgpr_read_b32 v4, a4
	v_accvgpr_read_b32 v216, a3
	v_mul_f64 v[174:175], v[190:191], s[20:21]
	v_accvgpr_read_b32 v124, a100
	v_add_f64 v[128:129], v[168:169], -v[128:129]
	v_add_f64 v[120:121], v[130:131], v[120:121]
	v_add_f64 v[2:3], v[2:3], v[78:79]
	;; [unrolled: 1-line block ×3, first 2 shown]
	v_mul_lo_u16_e32 v4, 17, v4
	v_add_f64 v[98:99], v[98:99], v[96:97]
	v_fma_f64 v[96:97], s[10:11], v[190:191], v[252:253]
	v_accvgpr_read_b32 v228, a0
	v_add_f64 v[124:125], v[174:175], -v[124:125]
	v_add_f64 v[120:121], v[128:129], v[120:121]
	v_add_f64 v[2:3], v[2:3], v[86:87]
	;; [unrolled: 1-line block ×3, first 2 shown]
	v_add_lshl_u32 v4, v216, v4, 4
	v_add_f64 v[96:97], v[96:97], v[246:247]
	v_add_f64 v[104:105], v[218:219], v[104:105]
	;; [unrolled: 1-line block ×3, first 2 shown]
	ds_write_b128 v4, v[0:3]
	ds_write_b128 v4, v[120:123] offset:16
	ds_write_b128 v4, v[92:95] offset:32
	;; [unrolled: 1-line block ×16, first 2 shown]
.LBB0_7:
	s_or_b64 exec, exec, s[34:35]
	v_accvgpr_read_b32 v0, a4
	v_add_lshl_u32 v50, v216, v0, 4
	s_waitcnt lgkmcnt(0)
	s_barrier
	ds_read_b128 v[84:87], v50
	ds_read_b128 v[76:79], v50 offset:1632
	ds_read_b128 v[108:111], v50 offset:3536
	;; [unrolled: 1-line block ×11, first 2 shown]
	v_cmp_gt_u16_e64 s[2:3], 17, v0
                                        ; implicit-def: $vgpr128_vgpr129
	s_and_saveexec_b64 s[8:9], s[2:3]
	s_cbranch_execz .LBB0_9
; %bb.8:
	ds_read_b128 v[60:63], v50 offset:3264
	ds_read_b128 v[80:83], v50 offset:6800
	;; [unrolled: 1-line block ×6, first 2 shown]
.LBB0_9:
	s_or_b64 exec, exec, s[8:9]
	v_accvgpr_read_b32 v6, a4
	s_movk_i32 s10, 0xf1
	v_add_u16_e32 v4, 0x66, v6
	v_mul_lo_u16_sdwa v0, v6, s10 dst_sel:DWORD dst_unused:UNUSED_PAD src0_sel:BYTE_0 src1_sel:DWORD
	v_mul_lo_u16_sdwa v5, v4, s10 dst_sel:DWORD dst_unused:UNUSED_PAD src0_sel:BYTE_0 src1_sel:DWORD
	v_lshrrev_b16_e32 v10, 12, v0
	v_lshrrev_b16_e32 v51, 12, v5
	v_mul_lo_u16_e32 v0, 17, v10
	v_mul_lo_u16_e32 v5, 17, v51
	v_sub_u16_e32 v0, v6, v0
	v_sub_u16_e32 v4, v4, v5
	v_and_b32_e32 v11, 0xff, v0
	s_movk_i32 s11, 0x50
	v_mov_b64_e32 v[0:1], s[0:1]
	v_and_b32_e32 v52, 0xff, v4
	v_mad_u64_u32 v[2:3], s[8:9], v11, s11, v[0:1]
	v_mad_u64_u32 v[0:1], s[8:9], v52, s11, v[0:1]
	global_load_dwordx4 v[148:151], v[2:3], off offset:48
	global_load_dwordx4 v[152:155], v[2:3], off offset:32
	;; [unrolled: 1-line block ×3, first 2 shown]
	global_load_dwordx4 v[160:163], v[2:3], off
	global_load_dwordx4 v[164:167], v[0:1], off offset:32
	global_load_dwordx4 v[172:175], v[0:1], off offset:16
	;; [unrolled: 1-line block ×3, first 2 shown]
	global_load_dwordx4 v[180:183], v[0:1], off
	global_load_dwordx4 v[168:171], v[0:1], off offset:48
	global_load_dwordx4 v[184:187], v[0:1], off offset:64
	v_add_u32_e32 v0, 0xcc, v6
	s_mov_b32 s8, 0xf0f1
	v_mul_u32_u24_sdwa v1, v0, s8 dst_sel:DWORD dst_unused:UNUSED_PAD src0_sel:WORD_0 src1_sel:DWORD
	v_lshrrev_b32_e32 v1, 20, v1
	v_mul_lo_u16_e32 v1, 17, v1
	v_sub_u16_e32 v210, v0, v1
	v_mul_lo_u16_e32 v0, 0x50, v210
	v_mov_b32_e32 v1, 0
	v_lshl_add_u64 v[0:1], s[0:1], 0, v[0:1]
	global_load_dwordx4 v[54:57], v[0:1], off
	global_load_dwordx4 v[140:143], v[0:1], off offset:16
	global_load_dwordx4 v[132:135], v[0:1], off offset:32
	;; [unrolled: 1-line block ×4, first 2 shown]
	s_mov_b32 s16, 0xe8584caa
	s_load_dwordx4 s[8:11], s[6:7], 0x0
	s_mov_b32 s17, 0x3febb67a
	s_mov_b32 s7, 0xbfebb67a
	s_mov_b32 s6, s16
	s_waitcnt lgkmcnt(0)
	s_barrier
	s_waitcnt vmcnt(10)
	v_mul_f64 v[38:39], v[96:97], v[166:167]
	v_mul_f64 v[16:17], v[122:123], v[150:151]
	;; [unrolled: 1-line block ×3, first 2 shown]
	s_waitcnt vmcnt(7)
	v_mul_f64 v[24:25], v[90:91], v[182:183]
	v_mul_f64 v[6:7], v[114:115], v[158:159]
	v_fma_f64 v[48:49], v[88:89], v[180:181], -v[24:25]
	v_mul_f64 v[8:9], v[112:113], v[158:159]
	v_mul_f64 v[26:27], v[94:95], v[174:175]
	;; [unrolled: 1-line block ×3, first 2 shown]
	s_waitcnt vmcnt(6)
	v_mul_f64 v[40:41], v[100:101], v[170:171]
	v_fma_f64 v[6:7], v[112:113], v[156:157], -v[6:7]
	v_fma_f64 v[16:17], v[120:121], v[148:149], -v[16:17]
	v_fmac_f64_e32 v[38:39], v[98:99], v[164:165]
	s_waitcnt vmcnt(2)
	v_mul_f64 v[24:25], v[70:71], v[134:135]
	v_fma_f64 v[98:99], v[68:69], v[132:133], -v[24:25]
	s_waitcnt vmcnt(1)
	v_mul_f64 v[24:25], v[66:67], v[138:139]
	v_mul_f64 v[46:47], v[88:89], v[182:183]
	;; [unrolled: 1-line block ×4, first 2 shown]
	v_fmac_f64_e32 v[8:9], v[114:115], v[156:157]
	v_fmac_f64_e32 v[18:19], v[122:123], v[148:149]
	v_fma_f64 v[88:89], v[92:93], v[172:173], -v[26:27]
	v_fmac_f64_e32 v[40:41], v[102:103], v[168:169]
	v_fma_f64 v[102:103], v[64:65], v[136:137], -v[24:25]
	s_waitcnt vmcnt(0)
	v_mul_f64 v[24:25], v[130:131], v[146:147]
	v_add_f64 v[26:27], v[6:7], v[16:17]
	v_mul_f64 v[12:13], v[118:119], v[154:155]
	v_mul_f64 v[20:21], v[126:127], v[178:179]
	;; [unrolled: 1-line block ×3, first 2 shown]
	v_fmac_f64_e32 v[42:43], v[106:107], v[184:185]
	v_fma_f64 v[106:107], v[128:129], v[144:145], -v[24:25]
	v_add_f64 v[24:25], v[84:85], v[6:7]
	v_fmac_f64_e32 v[84:85], -0.5, v[26:27]
	v_add_f64 v[26:27], v[8:9], -v[18:19]
	v_mul_f64 v[2:3], v[110:111], v[162:163]
	v_mul_f64 v[14:15], v[116:117], v[154:155]
	;; [unrolled: 1-line block ×3, first 2 shown]
	v_fma_f64 v[12:13], v[116:117], v[152:153], -v[12:13]
	v_fma_f64 v[20:21], v[124:125], v[176:177], -v[20:21]
	v_fmac_f64_e32 v[46:47], v[90:91], v[180:181]
	v_fma_f64 v[90:91], v[96:97], v[164:165], -v[28:29]
	v_fma_f64 v[28:29], s[16:17], v[26:27], v[84:85]
	v_fmac_f64_e32 v[84:85], s[6:7], v[26:27]
	v_add_f64 v[26:27], v[86:87], v[8:9]
	v_add_f64 v[8:9], v[8:9], v[18:19]
	v_mul_f64 v[4:5], v[108:109], v[162:163]
	v_fma_f64 v[2:3], v[108:109], v[160:161], -v[2:3]
	v_fmac_f64_e32 v[14:15], v[118:119], v[152:153]
	v_fmac_f64_e32 v[22:23], v[126:127], v[176:177]
	v_add_f64 v[24:25], v[24:25], v[16:17]
	v_fmac_f64_e32 v[86:87], -0.5, v[8:9]
	v_add_f64 v[6:7], v[6:7], -v[16:17]
	v_add_f64 v[16:17], v[12:13], v[20:21]
	v_fmac_f64_e32 v[4:5], v[110:111], v[160:161]
	v_fma_f64 v[8:9], s[6:7], v[6:7], v[86:87]
	v_fmac_f64_e32 v[86:87], s[16:17], v[6:7]
	v_add_f64 v[6:7], v[2:3], v[12:13]
	v_fmac_f64_e32 v[2:3], -0.5, v[16:17]
	v_add_f64 v[16:17], v[14:15], -v[22:23]
	v_add_f64 v[26:27], v[26:27], v[18:19]
	v_fma_f64 v[18:19], s[16:17], v[16:17], v[2:3]
	v_fmac_f64_e32 v[2:3], s[6:7], v[16:17]
	v_add_f64 v[16:17], v[4:5], v[14:15]
	v_add_f64 v[14:15], v[14:15], v[22:23]
	v_mul_f64 v[34:35], v[82:83], v[56:57]
	v_fmac_f64_e32 v[4:5], -0.5, v[14:15]
	v_add_f64 v[12:13], v[12:13], -v[20:21]
	v_mul_f64 v[36:37], v[92:93], v[174:175]
	v_mul_f64 v[0:1], v[80:81], v[56:57]
	v_fma_f64 v[92:93], v[100:101], v[168:169], -v[30:31]
	v_fma_f64 v[80:81], v[80:81], v[54:55], -v[34:35]
	v_add_f64 v[30:31], v[16:17], v[22:23]
	v_fma_f64 v[22:23], s[6:7], v[12:13], v[4:5]
	v_fmac_f64_e32 v[4:5], s[16:17], v[12:13]
	v_mul_f64 v[34:35], v[2:3], -0.5
	v_mul_f64 v[44:45], v[74:75], v[142:143]
	v_fmac_f64_e32 v[36:37], v[94:95], v[172:173]
	v_fma_f64 v[94:95], v[104:105], v[184:185], -v[32:33]
	v_mul_f64 v[32:33], v[22:23], s[16:17]
	v_fmac_f64_e32 v[34:35], s[16:17], v[4:5]
	v_mul_f64 v[4:5], v[4:5], -0.5
	v_fmac_f64_e32 v[0:1], v[82:83], v[54:55]
	v_fma_f64 v[82:83], v[72:73], v[140:141], -v[44:45]
	v_fmac_f64_e32 v[32:33], 0.5, v[18:19]
	v_mul_f64 v[44:45], v[18:19], s[6:7]
	v_fmac_f64_e32 v[4:5], s[6:7], v[2:3]
	v_add_f64 v[6:7], v[6:7], v[20:21]
	v_add_f64 v[16:17], v[28:29], v[32:33]
	;; [unrolled: 1-line block ×3, first 2 shown]
	v_fmac_f64_e32 v[44:45], 0.5, v[22:23]
	v_add_f64 v[22:23], v[86:87], v[4:5]
	v_add_f64 v[28:29], v[28:29], -v[32:33]
	v_add_f64 v[32:33], v[84:85], -v[34:35]
	;; [unrolled: 1-line block ×3, first 2 shown]
	v_add_f64 v[4:5], v[88:89], v[92:93]
	v_add_f64 v[14:15], v[26:27], v[30:31]
	;; [unrolled: 1-line block ×3, first 2 shown]
	v_add_f64 v[26:27], v[26:27], -v[30:31]
	v_add_f64 v[30:31], v[8:9], -v[44:45]
	v_add_f64 v[2:3], v[76:77], v[88:89]
	v_fmac_f64_e32 v[76:77], -0.5, v[4:5]
	v_add_f64 v[4:5], v[36:37], -v[40:41]
	v_add_f64 v[8:9], v[36:37], v[40:41]
	v_mul_f64 v[100:101], v[68:69], v[134:135]
	v_add_f64 v[12:13], v[24:25], v[6:7]
	v_add_f64 v[24:25], v[24:25], -v[6:7]
	v_fma_f64 v[6:7], s[16:17], v[4:5], v[76:77]
	v_fmac_f64_e32 v[76:77], s[6:7], v[4:5]
	v_add_f64 v[4:5], v[78:79], v[36:37]
	v_fmac_f64_e32 v[78:79], -0.5, v[8:9]
	v_add_f64 v[8:9], v[88:89], -v[92:93]
	v_add_f64 v[36:37], v[90:91], v[94:95]
	v_fmac_f64_e32 v[100:101], v[70:71], v[132:133]
	v_fma_f64 v[70:71], s[6:7], v[8:9], v[78:79]
	v_fmac_f64_e32 v[78:79], s[16:17], v[8:9]
	v_add_f64 v[8:9], v[48:49], v[90:91]
	v_fmac_f64_e32 v[48:49], -0.5, v[36:37]
	v_add_f64 v[36:37], v[38:39], -v[42:43]
	v_mul_f64 v[104:105], v[64:65], v[138:139]
	v_fma_f64 v[64:65], s[16:17], v[36:37], v[48:49]
	v_fmac_f64_e32 v[48:49], s[6:7], v[36:37]
	v_add_f64 v[36:37], v[46:47], v[38:39]
	v_fmac_f64_e32 v[104:105], v[66:67], v[136:137]
	v_add_f64 v[66:67], v[36:37], v[42:43]
	v_add_f64 v[36:37], v[38:39], v[42:43]
	v_fmac_f64_e32 v[46:47], -0.5, v[36:37]
	v_add_f64 v[36:37], v[90:91], -v[94:95]
	v_fma_f64 v[42:43], s[6:7], v[36:37], v[46:47]
	v_mul_f64 v[96:97], v[72:73], v[142:143]
	v_add_f64 v[4:5], v[4:5], v[40:41]
	v_mul_f64 v[68:69], v[42:43], s[16:17]
	v_fmac_f64_e32 v[96:97], v[74:75], v[140:141]
	v_add_f64 v[2:3], v[2:3], v[92:93]
	v_add_f64 v[8:9], v[8:9], v[94:95]
	v_fmac_f64_e32 v[46:47], s[16:17], v[36:37]
	v_fmac_f64_e32 v[68:69], 0.5, v[64:65]
	v_add_f64 v[38:39], v[4:5], v[66:67]
	v_add_f64 v[66:67], v[4:5], -v[66:67]
	v_add_f64 v[4:5], v[82:83], v[102:103]
	v_mul_f64 v[108:109], v[128:129], v[146:147]
	v_add_f64 v[36:37], v[2:3], v[8:9]
	v_add_f64 v[40:41], v[6:7], v[68:69]
	v_mul_f64 v[72:73], v[48:49], -0.5
	v_mul_f64 v[74:75], v[64:65], s[6:7]
	v_mul_f64 v[84:85], v[46:47], -0.5
	v_add_f64 v[64:65], v[2:3], -v[8:9]
	v_add_f64 v[68:69], v[6:7], -v[68:69]
	v_add_f64 v[2:3], v[60:61], v[82:83]
	v_fmac_f64_e32 v[60:61], -0.5, v[4:5]
	v_add_f64 v[4:5], v[96:97], -v[104:105]
	v_add_f64 v[6:7], v[96:97], v[104:105]
	v_fmac_f64_e32 v[108:109], v[130:131], v[144:145]
	v_fmac_f64_e32 v[72:73], s[16:17], v[46:47]
	v_fmac_f64_e32 v[84:85], s[6:7], v[48:49]
	v_fma_f64 v[48:49], s[16:17], v[4:5], v[60:61]
	v_fmac_f64_e32 v[60:61], s[6:7], v[4:5]
	v_add_f64 v[4:5], v[62:63], v[96:97]
	v_fmac_f64_e32 v[62:63], -0.5, v[6:7]
	v_add_f64 v[6:7], v[82:83], -v[102:103]
	v_add_f64 v[8:9], v[98:99], v[106:107]
	v_add_f64 v[44:45], v[76:77], v[72:73]
	v_fmac_f64_e32 v[74:75], 0.5, v[42:43]
	v_add_f64 v[72:73], v[76:77], -v[72:73]
	v_fma_f64 v[76:77], s[6:7], v[6:7], v[62:63]
	v_fmac_f64_e32 v[62:63], s[16:17], v[6:7]
	v_add_f64 v[6:7], v[80:81], v[98:99]
	v_fmac_f64_e32 v[80:81], -0.5, v[8:9]
	v_add_f64 v[8:9], v[100:101], -v[108:109]
	v_add_f64 v[82:83], v[100:101], v[108:109]
	v_add_f64 v[42:43], v[70:71], v[74:75]
	;; [unrolled: 1-line block ×3, first 2 shown]
	v_add_f64 v[70:71], v[70:71], -v[74:75]
	v_add_f64 v[74:75], v[78:79], -v[84:85]
	v_fma_f64 v[78:79], s[16:17], v[8:9], v[80:81]
	v_fmac_f64_e32 v[80:81], s[6:7], v[8:9]
	v_add_f64 v[8:9], v[0:1], v[100:101]
	v_fmac_f64_e32 v[0:1], -0.5, v[82:83]
	v_add_f64 v[82:83], v[98:99], -v[106:107]
	v_fma_f64 v[84:85], s[6:7], v[82:83], v[0:1]
	v_fmac_f64_e32 v[0:1], s[16:17], v[82:83]
	v_mul_f64 v[86:87], v[80:81], -0.5
	v_fmac_f64_e32 v[86:87], s[16:17], v[0:1]
	v_mul_f64 v[0:1], v[0:1], -0.5
	v_accvgpr_write_b32 a6, v54
	v_fmac_f64_e32 v[0:1], s[6:7], v[80:81]
	v_accvgpr_write_b32 a7, v55
	v_accvgpr_write_b32 a8, v56
	;; [unrolled: 1-line block ×3, first 2 shown]
	v_add_f64 v[118:119], v[62:63], v[0:1]
	v_add_f64 v[56:57], v[62:63], -v[0:1]
	v_mul_u32_u24_e32 v0, 0x66, v10
	v_mul_f64 v[82:83], v[84:85], s[16:17]
	v_add_u32_e32 v0, v0, v11
	v_fmac_f64_e32 v[82:83], 0.5, v[78:79]
	v_mul_f64 v[78:79], v[78:79], s[6:7]
	v_add_lshl_u32 v211, v216, v0, 4
	v_mul_u32_u24_e32 v0, 0x66, v51
	v_accvgpr_write_b32 a38, v160
	v_accvgpr_write_b32 a34, v156
	v_accvgpr_write_b32 a30, v152
	v_accvgpr_write_b32 a26, v148
	v_accvgpr_write_b32 a54, v176
	v_accvgpr_write_b32 a58, v180
	v_accvgpr_write_b32 a50, v172
	v_accvgpr_write_b32 a42, v164
	v_accvgpr_write_b32 a46, v168
	v_accvgpr_write_b32 a62, v184
	v_accvgpr_write_b32 a18, v140
	v_accvgpr_write_b32 a10, v132
	v_accvgpr_write_b32 a14, v136
	v_accvgpr_write_b32 a22, v144
	v_add_f64 v[2:3], v[2:3], v[102:103]
	v_add_f64 v[4:5], v[4:5], v[104:105]
	;; [unrolled: 1-line block ×4, first 2 shown]
	v_fmac_f64_e32 v[78:79], 0.5, v[84:85]
	v_add_f64 v[54:55], v[60:61], -v[86:87]
	v_accvgpr_write_b32 a85, v57
	v_add_u32_e32 v0, v0, v52
	v_accvgpr_write_b32 a39, v161
	v_accvgpr_write_b32 a40, v162
	;; [unrolled: 1-line block ×42, first 2 shown]
	v_add_f64 v[112:113], v[48:49], v[82:83]
	v_add_f64 v[116:117], v[60:61], v[86:87]
	;; [unrolled: 1-line block ×3, first 2 shown]
	v_add_f64 v[120:121], v[2:3], -v[6:7]
	v_add_f64 v[124:125], v[48:49], -v[82:83]
	;; [unrolled: 1-line block ×4, first 2 shown]
	v_accvgpr_write_b32 a84, v56
	v_accvgpr_write_b32 a83, v55
	;; [unrolled: 1-line block ×3, first 2 shown]
	v_add_lshl_u32 v212, v216, v0, 4
	ds_write_b128 v211, v[12:15]
	ds_write_b128 v211, v[16:19] offset:272
	ds_write_b128 v211, v[20:23] offset:544
	ds_write_b128 v211, v[24:27] offset:816
	ds_write_b128 v211, v[28:31] offset:1088
	ds_write_b128 v211, v[32:35] offset:1360
	ds_write_b128 v212, v[36:39]
	ds_write_b128 v212, v[40:43] offset:272
	ds_write_b128 v212, v[44:47] offset:544
	;; [unrolled: 1-line block ×5, first 2 shown]
	s_and_saveexec_b64 s[6:7], s[2:3]
	s_cbranch_execz .LBB0_11
; %bb.10:
	v_add_f64 v[4:5], v[4:5], v[8:9]
	v_add_f64 v[2:3], v[2:3], v[6:7]
	v_add_lshl_u32 v0, v216, v210, 4
	ds_write_b128 v0, v[2:5] offset:19584
	ds_write_b128 v0, v[112:115] offset:19856
	;; [unrolled: 1-line block ×6, first 2 shown]
.LBB0_11:
	s_or_b64 exec, exec, s[6:7]
	s_movk_i32 s6, 0xc0
	v_mov_b64_e32 v[0:1], s[0:1]
	v_accvgpr_read_b32 v52, a4
	v_mad_u64_u32 v[0:1], s[0:1], v52, s6, v[0:1]
	s_waitcnt lgkmcnt(0)
	s_barrier
	global_load_dwordx4 v[60:63], v[0:1], off offset:1360
	global_load_dwordx4 v[80:83], v[0:1], off offset:1376
	;; [unrolled: 1-line block ×12, first 2 shown]
	ds_read_b128 v[30:33], v50
	ds_read_b128 v[4:7], v50 offset:1632
	ds_read_b128 v[12:15], v50 offset:3264
	;; [unrolled: 1-line block ×12, first 2 shown]
	s_mov_b32 s28, 0x42a4c3d2
	s_mov_b32 s38, 0x66966769
	;; [unrolled: 1-line block ×30, first 2 shown]
	s_waitcnt vmcnt(11) lgkmcnt(11)
	v_mul_f64 v[28:29], v[6:7], v[62:63]
	v_mul_f64 v[144:145], v[4:5], v[62:63]
	s_waitcnt vmcnt(10) lgkmcnt(10)
	v_mul_f64 v[146:147], v[14:15], v[82:83]
	v_fma_f64 v[174:175], v[4:5], v[60:61], -v[28:29]
	s_waitcnt vmcnt(7) lgkmcnt(7)
	v_mul_f64 v[8:9], v[38:39], v[94:95]
	v_mul_f64 v[148:149], v[12:13], v[82:83]
	;; [unrolled: 1-line block ×4, first 2 shown]
	s_waitcnt vmcnt(6) lgkmcnt(6)
	v_mul_f64 v[156:157], v[44:45], v[90:91]
	v_fmac_f64_e32 v[144:145], v[6:7], v[60:61]
	v_fma_f64 v[146:147], v[12:13], v[80:81], -v[146:147]
	v_fmac_f64_e32 v[8:9], v[40:41], v[92:93]
	v_add_f64 v[40:41], v[30:31], v[174:175]
	v_mul_f64 v[24:25], v[20:21], v[72:73]
	v_mul_f64 v[152:153], v[36:37], v[68:69]
	;; [unrolled: 1-line block ×3, first 2 shown]
	v_fmac_f64_e32 v[148:149], v[14:15], v[80:81]
	v_fma_f64 v[28:29], v[20:21], v[70:71], -v[150:151]
	v_fma_f64 v[4:5], v[42:43], v[88:89], -v[156:157]
	v_add_f64 v[42:43], v[32:33], v[144:145]
	v_add_f64 v[40:41], v[40:41], v[146:147]
	v_mul_f64 v[16:17], v[34:35], v[68:69]
	v_fmac_f64_e32 v[24:25], v[22:23], v[70:71]
	v_fma_f64 v[20:21], v[34:35], v[66:67], -v[152:153]
	v_add_f64 v[42:43], v[42:43], v[148:149]
	v_add_f64 v[40:41], v[40:41], v[28:29]
	v_fmac_f64_e32 v[16:17], v[36:37], v[66:67]
	v_fma_f64 v[12:13], v[38:39], v[92:93], -v[154:155]
	v_add_f64 v[42:43], v[42:43], v[24:25]
	v_add_f64 v[40:41], v[40:41], v[20:21]
	s_waitcnt vmcnt(5) lgkmcnt(5)
	v_mul_f64 v[158:159], v[48:49], v[86:87]
	v_add_f64 v[42:43], v[42:43], v[16:17]
	v_add_f64 v[40:41], v[40:41], v[12:13]
	v_mul_f64 v[2:3], v[46:47], v[86:87]
	s_waitcnt vmcnt(4) lgkmcnt(4)
	v_mul_f64 v[160:161], v[78:79], v[56:57]
	v_fmac_f64_e32 v[0:1], v[44:45], v[88:89]
	v_fma_f64 v[6:7], v[46:47], v[84:85], -v[158:159]
	v_add_f64 v[42:43], v[42:43], v[8:9]
	v_add_f64 v[40:41], v[40:41], v[4:5]
	v_mul_f64 v[10:11], v[76:77], v[56:57]
	s_waitcnt vmcnt(3) lgkmcnt(3)
	v_mul_f64 v[162:163], v[130:131], v[110:111]
	v_fmac_f64_e32 v[2:3], v[48:49], v[84:85]
	v_fma_f64 v[14:15], v[76:77], v[54:55], -v[160:161]
	v_add_f64 v[42:43], v[42:43], v[0:1]
	v_add_f64 v[40:41], v[40:41], v[6:7]
	v_mul_f64 v[18:19], v[128:129], v[110:111]
	s_waitcnt vmcnt(2) lgkmcnt(2)
	v_mul_f64 v[164:165], v[134:135], v[106:107]
	v_fmac_f64_e32 v[10:11], v[78:79], v[54:55]
	v_fma_f64 v[22:23], v[128:129], v[108:109], -v[162:163]
	v_add_f64 v[42:43], v[42:43], v[2:3]
	v_add_f64 v[40:41], v[40:41], v[14:15]
	v_mul_f64 v[26:27], v[132:133], v[106:107]
	s_waitcnt vmcnt(1) lgkmcnt(1)
	v_mul_f64 v[166:167], v[138:139], v[102:103]
	v_fmac_f64_e32 v[18:19], v[130:131], v[108:109]
	v_fma_f64 v[34:35], v[132:133], v[104:105], -v[164:165]
	v_add_f64 v[42:43], v[42:43], v[10:11]
	v_add_f64 v[40:41], v[40:41], v[22:23]
	v_mul_f64 v[168:169], v[136:137], v[102:103]
	s_waitcnt vmcnt(0) lgkmcnt(0)
	v_mul_f64 v[170:171], v[142:143], v[98:99]
	v_mul_f64 v[172:173], v[140:141], v[98:99]
	v_fmac_f64_e32 v[26:27], v[134:135], v[104:105]
	v_fma_f64 v[36:37], v[136:137], v[100:101], -v[166:167]
	v_add_f64 v[42:43], v[42:43], v[18:19]
	v_add_f64 v[40:41], v[40:41], v[34:35]
	v_fmac_f64_e32 v[168:169], v[138:139], v[100:101]
	v_fma_f64 v[38:39], v[140:141], v[96:97], -v[170:171]
	v_fmac_f64_e32 v[172:173], v[142:143], v[96:97]
	v_add_f64 v[42:43], v[42:43], v[26:27]
	v_add_f64 v[40:41], v[40:41], v[36:37]
	;; [unrolled: 1-line block ×5, first 2 shown]
	v_add_f64 v[38:39], v[174:175], -v[38:39]
	v_add_f64 v[44:45], v[144:145], -v[172:173]
	v_add_f64 v[130:131], v[42:43], v[172:173]
	v_add_f64 v[42:43], v[144:145], v[172:173]
	v_mul_f64 v[46:47], v[44:45], s[18:19]
	v_mul_f64 v[76:77], v[38:39], s[18:19]
	;; [unrolled: 1-line block ×12, first 2 shown]
	v_fma_f64 v[48:49], v[40:41], s[16:17], -v[46:47]
	v_fma_f64 v[78:79], s[16:17], v[42:43], v[76:77]
	v_fmac_f64_e32 v[46:47], s[16:17], v[40:41]
	v_fma_f64 v[76:77], v[42:43], s[16:17], -v[76:77]
	v_fma_f64 v[134:135], v[40:41], s[6:7], -v[132:133]
	v_fma_f64 v[138:139], s[6:7], v[42:43], v[136:137]
	v_fmac_f64_e32 v[132:133], s[6:7], v[40:41]
	v_fma_f64 v[136:137], v[42:43], s[6:7], -v[136:137]
	;; [unrolled: 4-line block ×6, first 2 shown]
	v_add_f64 v[42:43], v[148:149], -v[168:169]
	v_add_f64 v[48:49], v[30:31], v[48:49]
	v_add_f64 v[78:79], v[32:33], v[78:79]
	;; [unrolled: 1-line block ×25, first 2 shown]
	v_mul_f64 v[44:45], v[42:43], s[28:29]
	v_add_f64 v[36:37], v[146:147], -v[36:37]
	v_fma_f64 v[146:147], v[38:39], s[6:7], -v[44:45]
	v_add_f64 v[40:41], v[148:149], v[168:169]
	v_add_f64 v[48:49], v[146:147], v[48:49]
	v_mul_f64 v[146:147], v[36:37], s[28:29]
	v_fmac_f64_e32 v[44:45], s[6:7], v[38:39]
	v_add_f64 v[44:45], v[44:45], v[46:47]
	v_fma_f64 v[46:47], v[40:41], s[6:7], -v[146:147]
	v_add_f64 v[46:47], v[46:47], v[76:77]
	v_mul_f64 v[76:77], v[42:43], s[22:23]
	v_fma_f64 v[148:149], s[6:7], v[40:41], v[146:147]
	v_fma_f64 v[146:147], v[38:39], s[20:21], -v[76:77]
	v_add_f64 v[134:135], v[146:147], v[134:135]
	v_mul_f64 v[146:147], v[36:37], s[22:23]
	v_fmac_f64_e32 v[76:77], s[20:21], v[38:39]
	v_add_f64 v[76:77], v[76:77], v[132:133]
	v_fma_f64 v[132:133], v[40:41], s[20:21], -v[146:147]
	v_add_f64 v[132:133], v[132:133], v[136:137]
	v_mul_f64 v[136:137], v[42:43], s[36:37]
	v_add_f64 v[78:79], v[148:149], v[78:79]
	v_fma_f64 v[148:149], s[20:21], v[40:41], v[146:147]
	v_fma_f64 v[146:147], v[38:39], s[34:35], -v[136:137]
	v_add_f64 v[142:143], v[146:147], v[142:143]
	v_mul_f64 v[146:147], v[36:37], s[36:37]
	v_fmac_f64_e32 v[136:137], s[34:35], v[38:39]
	v_add_f64 v[136:137], v[136:137], v[140:141]
	v_fma_f64 v[140:141], v[40:41], s[34:35], -v[146:147]
	v_add_f64 v[138:139], v[148:149], v[138:139]
	v_fma_f64 v[148:149], s[34:35], v[40:41], v[146:147]
	v_add_f64 v[140:141], v[140:141], v[144:145]
	v_mul_f64 v[144:145], v[42:43], s[40:41]
	v_add_f64 v[148:149], v[148:149], v[150:151]
	v_fma_f64 v[146:147], v[38:39], s[24:25], -v[144:145]
	v_mul_f64 v[150:151], v[36:37], s[40:41]
	v_fmac_f64_e32 v[144:145], s[24:25], v[38:39]
	v_add_f64 v[146:147], v[146:147], v[154:155]
	v_fma_f64 v[154:155], s[24:25], v[40:41], v[150:151]
	v_add_f64 v[144:145], v[144:145], v[152:153]
	v_fma_f64 v[150:151], v[40:41], s[24:25], -v[150:151]
	v_mul_f64 v[152:153], v[42:43], s[30:31]
	v_add_f64 v[154:155], v[154:155], v[158:159]
	v_add_f64 v[150:151], v[150:151], v[156:157]
	v_fma_f64 v[156:157], v[38:39], s[0:1], -v[152:153]
	v_mul_f64 v[158:159], v[36:37], s[30:31]
	s_mov_b32 s19, 0x3fddbe06
	v_add_f64 v[156:157], v[156:157], v[162:163]
	v_fma_f64 v[162:163], s[0:1], v[40:41], v[158:159]
	v_fmac_f64_e32 v[152:153], s[0:1], v[38:39]
	v_fma_f64 v[158:159], v[40:41], s[0:1], -v[158:159]
	v_mul_f64 v[42:43], v[42:43], s[18:19]
	v_mul_f64 v[36:37], v[36:37], s[18:19]
	v_add_f64 v[152:153], v[152:153], v[160:161]
	v_add_f64 v[158:159], v[158:159], v[164:165]
	v_fma_f64 v[160:161], v[38:39], s[16:17], -v[42:43]
	v_fma_f64 v[164:165], s[16:17], v[40:41], v[36:37]
	v_fmac_f64_e32 v[42:43], s[16:17], v[38:39]
	v_fma_f64 v[36:37], v[40:41], s[16:17], -v[36:37]
	v_add_f64 v[38:39], v[24:25], v[26:27]
	v_add_f64 v[24:25], v[24:25], -v[26:27]
	v_add_f64 v[32:33], v[36:37], v[32:33]
	v_add_f64 v[36:37], v[28:29], v[34:35]
	v_add_f64 v[28:29], v[28:29], -v[34:35]
	v_mul_f64 v[26:27], v[24:25], s[38:39]
	v_fma_f64 v[34:35], v[36:37], s[0:1], -v[26:27]
	v_mul_f64 v[40:41], v[28:29], s[38:39]
	v_fmac_f64_e32 v[26:27], s[0:1], v[36:37]
	v_add_f64 v[30:31], v[42:43], v[30:31]
	v_fma_f64 v[42:43], s[0:1], v[38:39], v[40:41]
	v_add_f64 v[26:27], v[26:27], v[44:45]
	v_fma_f64 v[40:41], v[38:39], s[0:1], -v[40:41]
	v_mul_f64 v[44:45], v[24:25], s[36:37]
	v_add_f64 v[34:35], v[34:35], v[48:49]
	v_add_f64 v[40:41], v[40:41], v[46:47]
	v_fma_f64 v[46:47], v[36:37], s[34:35], -v[44:45]
	v_mul_f64 v[48:49], v[28:29], s[36:37]
	v_fmac_f64_e32 v[44:45], s[34:35], v[36:37]
	v_add_f64 v[42:43], v[42:43], v[78:79]
	v_fma_f64 v[78:79], s[34:35], v[38:39], v[48:49]
	v_add_f64 v[44:45], v[44:45], v[76:77]
	v_fma_f64 v[48:49], v[38:39], s[34:35], -v[48:49]
	v_mul_f64 v[76:77], v[24:25], s[42:43]
	v_add_f64 v[46:47], v[46:47], v[134:135]
	v_add_f64 v[48:49], v[48:49], v[132:133]
	v_fma_f64 v[132:133], v[36:37], s[20:21], -v[76:77]
	v_mul_f64 v[134:135], v[28:29], s[42:43]
	v_fmac_f64_e32 v[76:77], s[20:21], v[36:37]
	v_add_f64 v[78:79], v[78:79], v[138:139]
	v_fma_f64 v[138:139], s[20:21], v[38:39], v[134:135]
	v_add_f64 v[76:77], v[76:77], v[136:137]
	v_fma_f64 v[134:135], v[38:39], s[20:21], -v[134:135]
	v_mul_f64 v[136:137], v[24:25], s[18:19]
	v_add_f64 v[132:133], v[132:133], v[142:143]
	v_add_f64 v[134:135], v[134:135], v[140:141]
	v_fma_f64 v[140:141], v[36:37], s[16:17], -v[136:137]
	v_mul_f64 v[142:143], v[28:29], s[18:19]
	v_fmac_f64_e32 v[136:137], s[16:17], v[36:37]
	v_add_f64 v[140:141], v[140:141], v[146:147]
	v_fma_f64 v[146:147], s[16:17], v[38:39], v[142:143]
	v_add_f64 v[136:137], v[136:137], v[144:145]
	v_fma_f64 v[142:143], v[38:39], s[16:17], -v[142:143]
	v_mul_f64 v[144:145], v[24:25], s[28:29]
	v_add_f64 v[138:139], v[138:139], v[148:149]
	v_add_f64 v[142:143], v[142:143], v[150:151]
	v_fma_f64 v[148:149], v[36:37], s[6:7], -v[144:145]
	v_mul_f64 v[150:151], v[28:29], s[28:29]
	v_mul_f64 v[28:29], v[28:29], s[26:27]
	v_add_f64 v[148:149], v[148:149], v[156:157]
	v_fmac_f64_e32 v[144:145], s[6:7], v[36:37]
	v_mul_f64 v[24:25], v[24:25], s[26:27]
	v_fma_f64 v[156:157], s[24:25], v[38:39], v[28:29]
	v_fma_f64 v[28:29], v[38:39], s[24:25], -v[28:29]
	v_add_f64 v[144:145], v[144:145], v[152:153]
	v_fma_f64 v[152:153], v[36:37], s[24:25], -v[24:25]
	v_fmac_f64_e32 v[24:25], s[24:25], v[36:37]
	v_add_f64 v[28:29], v[28:29], v[32:33]
	v_add_f64 v[32:33], v[16:17], v[18:19]
	v_add_f64 v[16:17], v[16:17], -v[18:19]
	v_add_f64 v[24:25], v[24:25], v[30:31]
	v_add_f64 v[30:31], v[20:21], v[22:23]
	v_mul_f64 v[18:19], v[16:17], s[22:23]
	v_add_f64 v[20:21], v[20:21], -v[22:23]
	v_fma_f64 v[22:23], v[30:31], s[20:21], -v[18:19]
	v_add_f64 v[22:23], v[22:23], v[34:35]
	v_mul_f64 v[34:35], v[20:21], s[22:23]
	v_fmac_f64_e32 v[18:19], s[20:21], v[30:31]
	v_fma_f64 v[36:37], s[20:21], v[32:33], v[34:35]
	v_add_f64 v[18:19], v[18:19], v[26:27]
	v_fma_f64 v[26:27], v[32:33], s[20:21], -v[34:35]
	v_mul_f64 v[34:35], v[16:17], s[40:41]
	v_add_f64 v[146:147], v[146:147], v[154:155]
	v_fma_f64 v[154:155], s[6:7], v[38:39], v[150:151]
	v_fma_f64 v[150:151], v[38:39], s[6:7], -v[150:151]
	v_add_f64 v[26:27], v[26:27], v[40:41]
	v_fma_f64 v[38:39], v[30:31], s[24:25], -v[34:35]
	v_mul_f64 v[40:41], v[20:21], s[40:41]
	v_fmac_f64_e32 v[34:35], s[24:25], v[30:31]
	v_add_f64 v[36:37], v[36:37], v[42:43]
	v_fma_f64 v[42:43], s[24:25], v[32:33], v[40:41]
	v_add_f64 v[34:35], v[34:35], v[44:45]
	v_fma_f64 v[40:41], v[32:33], s[24:25], -v[40:41]
	v_mul_f64 v[44:45], v[16:17], s[18:19]
	v_add_f64 v[38:39], v[38:39], v[46:47]
	v_add_f64 v[40:41], v[40:41], v[48:49]
	v_fma_f64 v[46:47], v[30:31], s[16:17], -v[44:45]
	v_mul_f64 v[48:49], v[20:21], s[18:19]
	v_fmac_f64_e32 v[44:45], s[16:17], v[30:31]
	v_add_f64 v[42:43], v[42:43], v[78:79]
	v_fma_f64 v[78:79], s[16:17], v[32:33], v[48:49]
	v_add_f64 v[44:45], v[44:45], v[76:77]
	v_fma_f64 v[48:49], v[32:33], s[16:17], -v[48:49]
	v_mul_f64 v[76:77], v[16:17], s[38:39]
	v_add_f64 v[46:47], v[46:47], v[132:133]
	v_add_f64 v[48:49], v[48:49], v[134:135]
	v_fma_f64 v[132:133], v[30:31], s[0:1], -v[76:77]
	v_mul_f64 v[134:135], v[20:21], s[38:39]
	v_fmac_f64_e32 v[76:77], s[0:1], v[30:31]
	s_mov_b32 s41, 0x3fcea1e5
	s_mov_b32 s40, s36
	v_add_f64 v[78:79], v[78:79], v[138:139]
	v_fma_f64 v[138:139], s[0:1], v[32:33], v[134:135]
	v_add_f64 v[76:77], v[76:77], v[136:137]
	v_fma_f64 v[134:135], v[32:33], s[0:1], -v[134:135]
	v_mul_f64 v[136:137], v[16:17], s[40:41]
	s_mov_b32 s39, 0x3fea55e2
	s_mov_b32 s38, s28
	v_add_f64 v[132:133], v[132:133], v[140:141]
	v_add_f64 v[134:135], v[134:135], v[142:143]
	v_fma_f64 v[140:141], v[30:31], s[34:35], -v[136:137]
	v_mul_f64 v[142:143], v[20:21], s[40:41]
	v_mul_f64 v[20:21], v[20:21], s[38:39]
	v_add_f64 v[140:141], v[140:141], v[148:149]
	v_fmac_f64_e32 v[136:137], s[34:35], v[30:31]
	v_mul_f64 v[16:17], v[16:17], s[38:39]
	v_fma_f64 v[148:149], s[6:7], v[32:33], v[20:21]
	v_fma_f64 v[20:21], v[32:33], s[6:7], -v[20:21]
	v_add_f64 v[136:137], v[136:137], v[144:145]
	v_fma_f64 v[144:145], v[30:31], s[6:7], -v[16:17]
	v_fmac_f64_e32 v[16:17], s[6:7], v[30:31]
	v_add_f64 v[20:21], v[20:21], v[28:29]
	v_add_f64 v[28:29], v[8:9], v[10:11]
	v_add_f64 v[8:9], v[8:9], -v[10:11]
	v_add_f64 v[16:17], v[16:17], v[24:25]
	v_add_f64 v[24:25], v[12:13], v[14:15]
	v_mul_f64 v[10:11], v[8:9], s[26:27]
	v_add_f64 v[12:13], v[12:13], -v[14:15]
	v_fma_f64 v[14:15], v[24:25], s[24:25], -v[10:11]
	v_add_f64 v[14:15], v[14:15], v[22:23]
	v_mul_f64 v[22:23], v[12:13], s[26:27]
	v_fmac_f64_e32 v[10:11], s[24:25], v[24:25]
	v_fma_f64 v[30:31], s[24:25], v[28:29], v[22:23]
	v_add_f64 v[10:11], v[10:11], v[18:19]
	v_fma_f64 v[18:19], v[28:29], s[24:25], -v[22:23]
	v_mul_f64 v[22:23], v[8:9], s[30:31]
	v_add_f64 v[18:19], v[18:19], v[26:27]
	v_fma_f64 v[26:27], v[24:25], s[0:1], -v[22:23]
	v_fmac_f64_e32 v[22:23], s[0:1], v[24:25]
	v_add_f64 v[22:23], v[22:23], v[34:35]
	v_mul_f64 v[34:35], v[8:9], s[28:29]
	v_add_f64 v[138:139], v[138:139], v[146:147]
	v_fma_f64 v[146:147], s[34:35], v[32:33], v[142:143]
	v_fma_f64 v[142:143], v[32:33], s[34:35], -v[142:143]
	v_add_f64 v[26:27], v[26:27], v[38:39]
	v_mul_f64 v[32:33], v[12:13], s[30:31]
	v_fma_f64 v[38:39], v[24:25], s[6:7], -v[34:35]
	v_fmac_f64_e32 v[34:35], s[6:7], v[24:25]
	v_add_f64 v[30:31], v[30:31], v[36:37]
	v_fma_f64 v[36:37], s[0:1], v[28:29], v[32:33]
	v_fma_f64 v[32:33], v[28:29], s[0:1], -v[32:33]
	v_add_f64 v[34:35], v[34:35], v[44:45]
	v_mul_f64 v[44:45], v[8:9], s[40:41]
	v_add_f64 v[32:33], v[32:33], v[40:41]
	v_add_f64 v[38:39], v[38:39], v[46:47]
	v_mul_f64 v[40:41], v[12:13], s[28:29]
	v_fma_f64 v[46:47], v[24:25], s[34:35], -v[44:45]
	v_fmac_f64_e32 v[44:45], s[34:35], v[24:25]
	v_add_f64 v[36:37], v[36:37], v[42:43]
	v_fma_f64 v[42:43], s[6:7], v[28:29], v[40:41]
	v_fma_f64 v[40:41], v[28:29], s[6:7], -v[40:41]
	v_add_f64 v[44:45], v[44:45], v[76:77]
	v_mul_f64 v[76:77], v[8:9], s[18:19]
	v_add_f64 v[150:151], v[150:151], v[158:159]
	v_add_f64 v[40:41], v[40:41], v[48:49]
	;; [unrolled: 1-line block ×3, first 2 shown]
	v_mul_f64 v[48:49], v[12:13], s[40:41]
	v_fma_f64 v[132:133], v[24:25], s[16:17], -v[76:77]
	v_add_f64 v[160:161], v[160:161], v[170:171]
	v_add_f64 v[142:143], v[142:143], v[150:151]
	;; [unrolled: 1-line block ×3, first 2 shown]
	v_fma_f64 v[78:79], s[34:35], v[28:29], v[48:49]
	v_fma_f64 v[48:49], v[28:29], s[34:35], -v[48:49]
	v_add_f64 v[150:151], v[132:133], v[140:141]
	v_mul_f64 v[132:133], v[12:13], s[18:19]
	v_add_f64 v[152:153], v[152:153], v[160:161]
	v_add_f64 v[48:49], v[48:49], v[134:135]
	v_fma_f64 v[134:135], s[16:17], v[28:29], v[132:133]
	v_fma_f64 v[132:133], v[28:29], s[16:17], -v[132:133]
	v_mul_f64 v[8:9], v[8:9], s[22:23]
	v_add_f64 v[162:163], v[162:163], v[166:167]
	v_add_f64 v[144:145], v[144:145], v[152:153]
	;; [unrolled: 1-line block ×3, first 2 shown]
	v_fma_f64 v[132:133], v[24:25], s[20:21], -v[8:9]
	v_mul_f64 v[12:13], v[12:13], s[22:23]
	v_add_f64 v[176:177], v[132:133], v[144:145]
	v_fma_f64 v[132:133], s[20:21], v[28:29], v[12:13]
	v_fma_f64 v[12:13], v[28:29], s[20:21], -v[12:13]
	v_add_f64 v[164:165], v[164:165], v[172:173]
	v_fmac_f64_e32 v[8:9], s[20:21], v[24:25]
	v_add_f64 v[12:13], v[12:13], v[20:21]
	v_add_f64 v[20:21], v[0:1], v[2:3]
	v_add_f64 v[0:1], v[0:1], -v[2:3]
	v_add_f64 v[156:157], v[156:157], v[164:165]
	v_add_f64 v[8:9], v[8:9], v[16:17]
	;; [unrolled: 1-line block ×3, first 2 shown]
	v_mul_f64 v[2:3], v[0:1], s[36:37]
	v_add_f64 v[148:149], v[148:149], v[156:157]
	v_add_f64 v[4:5], v[4:5], -v[6:7]
	v_fma_f64 v[6:7], v[16:17], s[34:35], -v[2:3]
	v_add_f64 v[178:179], v[132:133], v[148:149]
	v_add_f64 v[132:133], v[6:7], v[14:15]
	v_mul_f64 v[6:7], v[4:5], s[36:37]
	v_fmac_f64_e32 v[2:3], s[34:35], v[16:17]
	v_add_f64 v[154:155], v[154:155], v[162:163]
	v_add_f64 v[152:153], v[2:3], v[10:11]
	v_fma_f64 v[2:3], v[20:21], s[34:35], -v[6:7]
	v_add_f64 v[146:147], v[146:147], v[154:155]
	v_add_f64 v[154:155], v[2:3], v[18:19]
	v_mul_f64 v[2:3], v[0:1], s[18:19]
	v_fmac_f64_e32 v[76:77], s[16:17], v[24:25]
	v_fma_f64 v[14:15], s[34:35], v[20:21], v[6:7]
	v_fma_f64 v[6:7], v[16:17], s[16:17], -v[2:3]
	v_add_f64 v[76:77], v[76:77], v[136:137]
	v_add_f64 v[136:137], v[6:7], v[26:27]
	v_mul_f64 v[6:7], v[4:5], s[18:19]
	v_fmac_f64_e32 v[2:3], s[16:17], v[16:17]
	v_add_f64 v[156:157], v[2:3], v[22:23]
	v_fma_f64 v[2:3], v[20:21], s[16:17], -v[6:7]
	v_add_f64 v[158:159], v[2:3], v[32:33]
	v_mul_f64 v[2:3], v[0:1], s[26:27]
	v_fma_f64 v[10:11], s[16:17], v[20:21], v[6:7]
	v_fma_f64 v[6:7], v[16:17], s[24:25], -v[2:3]
	v_add_f64 v[140:141], v[6:7], v[38:39]
	v_mul_f64 v[6:7], v[4:5], s[26:27]
	v_fmac_f64_e32 v[2:3], s[24:25], v[16:17]
	v_add_f64 v[160:161], v[2:3], v[34:35]
	v_fma_f64 v[2:3], v[20:21], s[24:25], -v[6:7]
	v_add_f64 v[162:163], v[2:3], v[40:41]
	v_mul_f64 v[2:3], v[0:1], s[38:39]
	v_add_f64 v[78:79], v[78:79], v[138:139]
	v_add_f64 v[138:139], v[10:11], v[36:37]
	v_fma_f64 v[10:11], s[24:25], v[20:21], v[6:7]
	v_fma_f64 v[6:7], v[16:17], s[6:7], -v[2:3]
	v_add_f64 v[144:145], v[6:7], v[46:47]
	v_mul_f64 v[6:7], v[4:5], s[38:39]
	v_fmac_f64_e32 v[2:3], s[6:7], v[16:17]
	v_add_f64 v[168:169], v[2:3], v[44:45]
	v_fma_f64 v[2:3], v[20:21], s[6:7], -v[6:7]
	v_add_f64 v[170:171], v[2:3], v[48:49]
	v_mul_f64 v[2:3], v[0:1], s[22:23]
	v_add_f64 v[142:143], v[10:11], v[42:43]
	v_fma_f64 v[10:11], s[6:7], v[20:21], v[6:7]
	v_fma_f64 v[6:7], v[16:17], s[20:21], -v[2:3]
	v_add_f64 v[148:149], v[6:7], v[150:151]
	v_mul_f64 v[6:7], v[4:5], s[22:23]
	v_fmac_f64_e32 v[2:3], s[20:21], v[16:17]
	v_add_f64 v[172:173], v[2:3], v[76:77]
	v_fma_f64 v[2:3], v[20:21], s[20:21], -v[6:7]
	v_mul_f64 v[0:1], v[0:1], s[30:31]
	v_add_f64 v[164:165], v[134:135], v[146:147]
	v_add_f64 v[146:147], v[10:11], v[78:79]
	v_fma_f64 v[10:11], s[20:21], v[20:21], v[6:7]
	v_add_f64 v[174:175], v[2:3], v[166:167]
	v_fma_f64 v[2:3], v[16:17], s[0:1], -v[0:1]
	v_add_f64 v[150:151], v[10:11], v[164:165]
	v_add_f64 v[164:165], v[2:3], v[176:177]
	v_mul_f64 v[2:3], v[4:5], s[30:31]
	v_fmac_f64_e32 v[0:1], s[0:1], v[16:17]
	v_fma_f64 v[4:5], s[0:1], v[20:21], v[2:3]
	v_add_f64 v[176:177], v[0:1], v[8:9]
	v_fma_f64 v[0:1], v[20:21], s[0:1], -v[2:3]
	v_accvgpr_write_b32 a89, v57
	v_add_f64 v[166:167], v[4:5], v[178:179]
	v_add_f64 v[178:179], v[0:1], v[12:13]
	v_accvgpr_read_b32 v0, a1
	v_accvgpr_write_b32 a88, v56
	v_accvgpr_write_b32 a87, v55
	;; [unrolled: 1-line block ×3, first 2 shown]
	v_add_f64 v[134:135], v[14:15], v[30:31]
	v_lshl_add_u32 v51, v52, 4, v0
	ds_write_b128 v51, v[128:131]
	ds_write_b128 v51, v[132:135] offset:1632
	ds_write_b128 v51, v[136:139] offset:3264
	ds_write_b128 v51, v[140:143] offset:4896
	ds_write_b128 v51, v[144:147] offset:6528
	ds_write_b128 v51, v[148:151] offset:8160
	ds_write_b128 v51, v[164:167] offset:9792
	ds_write_b128 v51, v[176:179] offset:11424
	ds_write_b128 v51, v[172:175] offset:13056
	ds_write_b128 v51, v[168:171] offset:14688
	ds_write_b128 v51, v[160:163] offset:16320
	ds_write_b128 v51, v[156:159] offset:17952
	ds_write_b128 v51, v[152:155] offset:19584
	s_waitcnt lgkmcnt(0)
	s_barrier
	s_and_saveexec_b64 s[0:1], s[4:5]
	s_cbranch_execz .LBB0_13
; %bb.12:
	v_mov_b32_e32 v229, 0
	v_lshl_add_u64 v[76:77], s[12:13], 0, v[228:229]
	v_add_co_u32_e32 v4, vcc, 0x5000, v76
	ds_read_b128 v[0:3], v51
	ds_read_b128 v[180:183], v51 offset:19968
	v_addc_co_u32_e32 v5, vcc, 0, v77, vcc
	global_load_dwordx4 v[4:7], v[4:5], off offset:736
	s_mov_b64 s[6:7], 0x52e0
	v_lshl_add_u64 v[12:13], v[76:77], 0, s[6:7]
	s_movk_i32 s6, 0x6000
	s_waitcnt vmcnt(0) lgkmcnt(1)
	v_mul_f64 v[8:9], v[2:3], v[6:7]
	v_mul_f64 v[10:11], v[0:1], v[6:7]
	v_fma_f64 v[8:9], v[0:1], v[4:5], -v[8:9]
	v_fmac_f64_e32 v[10:11], v[2:3], v[4:5]
	global_load_dwordx4 v[4:7], v[12:13], off offset:1248
	ds_read_b128 v[0:3], v51 offset:1248
	ds_write_b128 v51, v[8:11]
	s_waitcnt vmcnt(0) lgkmcnt(1)
	v_mul_f64 v[8:9], v[2:3], v[6:7]
	v_mul_f64 v[10:11], v[0:1], v[6:7]
	v_fma_f64 v[8:9], v[0:1], v[4:5], -v[8:9]
	v_fmac_f64_e32 v[10:11], v[2:3], v[4:5]
	global_load_dwordx4 v[4:7], v[12:13], off offset:2496
	ds_read_b128 v[0:3], v51 offset:2496
	ds_write_b128 v51, v[8:11] offset:1248
	s_waitcnt vmcnt(0) lgkmcnt(1)
	v_mul_f64 v[8:9], v[2:3], v[6:7]
	v_mul_f64 v[10:11], v[0:1], v[6:7]
	v_fma_f64 v[8:9], v[0:1], v[4:5], -v[8:9]
	v_fmac_f64_e32 v[10:11], v[2:3], v[4:5]
	global_load_dwordx4 v[4:7], v[12:13], off offset:3744
	ds_read_b128 v[0:3], v51 offset:3744
	v_add_co_u32_e32 v12, vcc, s6, v76
	ds_write_b128 v51, v[8:11] offset:2496
	s_nop 0
	v_addc_co_u32_e32 v13, vcc, 0, v77, vcc
	s_movk_i32 s6, 0x7000
	s_waitcnt vmcnt(0) lgkmcnt(1)
	v_mul_f64 v[8:9], v[2:3], v[6:7]
	v_mul_f64 v[10:11], v[0:1], v[6:7]
	v_fma_f64 v[8:9], v[0:1], v[4:5], -v[8:9]
	v_fmac_f64_e32 v[10:11], v[2:3], v[4:5]
	global_load_dwordx4 v[4:7], v[12:13], off offset:1632
	ds_read_b128 v[0:3], v51 offset:4992
	ds_write_b128 v51, v[8:11] offset:3744
	s_waitcnt vmcnt(0) lgkmcnt(1)
	v_mul_f64 v[8:9], v[2:3], v[6:7]
	v_mul_f64 v[10:11], v[0:1], v[6:7]
	v_fma_f64 v[8:9], v[0:1], v[4:5], -v[8:9]
	v_fmac_f64_e32 v[10:11], v[2:3], v[4:5]
	global_load_dwordx4 v[4:7], v[12:13], off offset:2880
	ds_read_b128 v[0:3], v51 offset:6240
	v_add_co_u32_e32 v12, vcc, s6, v76
	ds_write_b128 v51, v[8:11] offset:4992
	s_nop 0
	v_addc_co_u32_e32 v13, vcc, 0, v77, vcc
	s_mov_b32 s6, 0x8000
	s_waitcnt vmcnt(0) lgkmcnt(1)
	v_mul_f64 v[8:9], v[2:3], v[6:7]
	v_mul_f64 v[10:11], v[0:1], v[6:7]
	v_fma_f64 v[8:9], v[0:1], v[4:5], -v[8:9]
	v_fmac_f64_e32 v[10:11], v[2:3], v[4:5]
	global_load_dwordx4 v[4:7], v[12:13], off offset:32
	ds_read_b128 v[0:3], v51 offset:7488
	ds_write_b128 v51, v[8:11] offset:6240
	s_waitcnt vmcnt(0) lgkmcnt(1)
	v_mul_f64 v[8:9], v[2:3], v[6:7]
	v_mul_f64 v[10:11], v[0:1], v[6:7]
	v_fma_f64 v[8:9], v[0:1], v[4:5], -v[8:9]
	v_fmac_f64_e32 v[10:11], v[2:3], v[4:5]
	global_load_dwordx4 v[4:7], v[12:13], off offset:1280
	ds_read_b128 v[0:3], v51 offset:8736
	ds_write_b128 v51, v[8:11] offset:7488
	;; [unrolled: 8-line block ×3, first 2 shown]
	s_waitcnt vmcnt(0) lgkmcnt(1)
	v_mul_f64 v[8:9], v[2:3], v[6:7]
	v_mul_f64 v[10:11], v[0:1], v[6:7]
	v_fma_f64 v[8:9], v[0:1], v[4:5], -v[8:9]
	v_fmac_f64_e32 v[10:11], v[2:3], v[4:5]
	global_load_dwordx4 v[4:7], v[12:13], off offset:3776
	ds_read_b128 v[0:3], v51 offset:11232
	v_add_co_u32_e32 v12, vcc, s6, v76
	ds_write_b128 v51, v[8:11] offset:9984
	s_nop 0
	v_addc_co_u32_e32 v13, vcc, 0, v77, vcc
	s_mov_b32 s6, 0x9000
	s_waitcnt vmcnt(0) lgkmcnt(1)
	v_mul_f64 v[8:9], v[2:3], v[6:7]
	v_mul_f64 v[10:11], v[0:1], v[6:7]
	v_fma_f64 v[8:9], v[0:1], v[4:5], -v[8:9]
	v_fmac_f64_e32 v[10:11], v[2:3], v[4:5]
	global_load_dwordx4 v[4:7], v[12:13], off offset:928
	ds_read_b128 v[0:3], v51 offset:12480
	ds_write_b128 v51, v[8:11] offset:11232
	s_waitcnt vmcnt(0) lgkmcnt(1)
	v_mul_f64 v[8:9], v[2:3], v[6:7]
	v_mul_f64 v[10:11], v[0:1], v[6:7]
	v_fma_f64 v[8:9], v[0:1], v[4:5], -v[8:9]
	v_fmac_f64_e32 v[10:11], v[2:3], v[4:5]
	global_load_dwordx4 v[4:7], v[12:13], off offset:2176
	ds_read_b128 v[0:3], v51 offset:13728
	ds_write_b128 v51, v[8:11] offset:12480
	s_waitcnt vmcnt(0) lgkmcnt(1)
	v_mul_f64 v[8:9], v[2:3], v[6:7]
	v_mul_f64 v[10:11], v[0:1], v[6:7]
	v_fma_f64 v[8:9], v[0:1], v[4:5], -v[8:9]
	v_fmac_f64_e32 v[10:11], v[2:3], v[4:5]
	global_load_dwordx4 v[4:7], v[12:13], off offset:3424
	ds_read_b128 v[0:3], v51 offset:14976
	v_add_co_u32_e32 v12, vcc, s6, v76
	ds_write_b128 v51, v[8:11] offset:13728
	s_nop 0
	v_addc_co_u32_e32 v13, vcc, 0, v77, vcc
	s_mov_b32 s6, 0xa000
	s_waitcnt vmcnt(0) lgkmcnt(1)
	v_mul_f64 v[8:9], v[2:3], v[6:7]
	v_mul_f64 v[10:11], v[0:1], v[6:7]
	v_fma_f64 v[8:9], v[0:1], v[4:5], -v[8:9]
	v_fmac_f64_e32 v[10:11], v[2:3], v[4:5]
	global_load_dwordx4 v[4:7], v[12:13], off offset:576
	ds_read_b128 v[0:3], v51 offset:16224
	ds_write_b128 v51, v[8:11] offset:14976
	s_waitcnt vmcnt(0) lgkmcnt(1)
	v_mul_f64 v[8:9], v[2:3], v[6:7]
	v_mul_f64 v[10:11], v[0:1], v[6:7]
	v_fma_f64 v[8:9], v[0:1], v[4:5], -v[8:9]
	v_fmac_f64_e32 v[10:11], v[2:3], v[4:5]
	global_load_dwordx4 v[4:7], v[12:13], off offset:1824
	ds_read_b128 v[0:3], v51 offset:17472
	ds_write_b128 v51, v[8:11] offset:16224
	;; [unrolled: 8-line block ×3, first 2 shown]
	s_waitcnt vmcnt(0) lgkmcnt(1)
	v_mul_f64 v[8:9], v[2:3], v[6:7]
	v_fma_f64 v[8:9], v[0:1], v[4:5], -v[8:9]
	v_mul_f64 v[10:11], v[0:1], v[6:7]
	v_add_co_u32_e32 v0, vcc, s6, v76
	v_fmac_f64_e32 v[10:11], v[2:3], v[4:5]
	s_nop 0
	v_addc_co_u32_e32 v1, vcc, 0, v77, vcc
	global_load_dwordx4 v[184:187], v[0:1], off offset:224
	ds_write_b128 v51, v[8:11] offset:18720
	s_waitcnt vmcnt(0)
	v_mul_f64 v[0:1], v[182:183], v[186:187]
	v_mul_f64 v[2:3], v[180:181], v[186:187]
	v_fma_f64 v[0:1], v[180:181], v[184:185], -v[0:1]
	v_fmac_f64_e32 v[2:3], v[182:183], v[184:185]
	ds_write_b128 v51, v[0:3] offset:19968
.LBB0_13:
	s_or_b64 exec, exec, s[0:1]
	s_waitcnt lgkmcnt(0)
	s_barrier
	s_and_saveexec_b64 s[0:1], s[4:5]
	s_cbranch_execz .LBB0_15
; %bb.14:
	ds_read_b128 v[128:131], v51
	ds_read_b128 v[132:135], v51 offset:1248
	ds_read_b128 v[136:139], v51 offset:2496
	;; [unrolled: 1-line block ×16, first 2 shown]
.LBB0_15:
	s_or_b64 exec, exec, s[0:1]
	s_mov_b32 s20, 0x75d4884
	s_waitcnt lgkmcnt(0)
	v_add_f64 v[220:221], v[134:135], v[126:127]
	s_mov_b32 s21, 0x3fe7a5f6
	s_mov_b32 s30, 0x2a9d6da3
	v_add_f64 v[238:239], v[132:133], -v[124:125]
	s_mov_b32 s31, 0xbfe58eea
	v_mul_f64 v[64:65], v[220:221], s[20:21]
	s_mov_b32 s18, 0x7c9e640b
	v_add_f64 v[216:217], v[134:135], -v[126:127]
	v_fma_f64 v[6:7], s[30:31], v[238:239], v[64:65]
	s_mov_b32 s19, 0xbfeca52d
	v_add_f64 v[8:9], v[130:131], v[6:7]
	s_mov_b32 s6, 0x2b2883cd
	v_mul_f64 v[6:7], v[216:217], s[18:19]
	v_add_f64 v[236:237], v[132:133], v[124:125]
	s_mov_b32 s7, 0x3fdc86fa
	v_accvgpr_write_b32 a103, v7
	v_mul_f64 v[12:13], v[220:221], s[6:7]
	v_accvgpr_write_b32 a102, v6
	v_fma_f64 v[6:7], v[236:237], s[6:7], -v[6:7]
	s_mov_b32 s22, 0xeb564b22
	v_add_f64 v[10:11], v[128:129], v[6:7]
	v_fma_f64 v[6:7], s[18:19], v[238:239], v[12:13]
	s_mov_b32 s23, 0xbfefdd0d
	v_add_f64 v[16:17], v[130:131], v[6:7]
	s_mov_b32 s24, 0x3259b75e
	v_mul_f64 v[6:7], v[216:217], s[22:23]
	s_mov_b32 s28, 0x5d8e7cdc
	v_accvgpr_write_b32 a113, v13
	s_mov_b32 s25, 0x3fb79ee6
	v_accvgpr_write_b32 a125, v7
	s_mov_b32 s0, 0x370991
	s_mov_b32 s29, 0xbfd71e95
	v_accvgpr_write_b32 a112, v12
	v_mul_f64 v[12:13], v[220:221], s[24:25]
	v_accvgpr_write_b32 a124, v6
	v_fma_f64 v[6:7], v[236:237], s[24:25], -v[6:7]
	s_mov_b32 s1, 0x3fedd6d0
	v_mul_f64 v[54:55], v[216:217], s[28:29]
	v_add_f64 v[14:15], v[128:129], v[6:7]
	v_accvgpr_write_b32 a133, v13
	v_fma_f64 v[6:7], s[22:23], v[238:239], v[12:13]
	v_add_f64 v[218:219], v[138:139], -v[122:123]
	v_mul_f64 v[56:57], v[220:221], s[0:1]
	v_fma_f64 v[0:1], v[236:237], s[0:1], -v[54:55]
	v_accvgpr_write_b32 a132, v12
	v_add_f64 v[12:13], v[130:131], v[6:7]
	v_add_f64 v[252:253], v[136:137], v[120:121]
	;; [unrolled: 1-line block ×3, first 2 shown]
	v_mul_f64 v[74:75], v[218:219], s[30:31]
	v_add_f64 v[0:1], v[128:129], v[0:1]
	v_fma_f64 v[2:3], s[28:29], v[238:239], v[56:57]
	v_add_f64 v[234:235], v[136:137], -v[120:121]
	v_mul_f64 v[20:21], v[6:7], s[20:21]
	v_fma_f64 v[18:19], v[252:253], s[20:21], -v[74:75]
	v_add_f64 v[2:3], v[130:131], v[2:3]
	v_add_f64 v[0:1], v[18:19], v[0:1]
	v_fma_f64 v[18:19], s[30:31], v[234:235], v[20:21]
	v_mul_f64 v[58:59], v[216:217], s[30:31]
	v_add_f64 v[2:3], v[18:19], v[2:3]
	v_mul_f64 v[18:19], v[218:219], s[22:23]
	v_fma_f64 v[4:5], v[236:237], s[20:21], -v[58:59]
	v_accvgpr_write_b32 a93, v21
	v_accvgpr_write_b32 a95, v19
	v_add_f64 v[4:5], v[128:129], v[4:5]
	v_accvgpr_write_b32 a92, v20
	v_mul_f64 v[20:21], v[6:7], s[24:25]
	v_accvgpr_write_b32 a94, v18
	v_fma_f64 v[18:19], v[252:253], s[24:25], -v[18:19]
	s_mov_b32 s38, 0x6c9a05f6
	v_add_f64 v[4:5], v[18:19], v[4:5]
	v_fma_f64 v[18:19], s[22:23], v[234:235], v[20:21]
	s_mov_b32 s39, 0xbfe9895b
	v_add_f64 v[8:9], v[18:19], v[8:9]
	s_mov_b32 s40, 0x6ed5f1bb
	v_mul_f64 v[18:19], v[218:219], s[38:39]
	v_accvgpr_write_b32 a97, v21
	s_mov_b32 s41, 0xbfe348c8
	v_accvgpr_write_b32 a121, v19
	v_accvgpr_write_b32 a96, v20
	v_mul_f64 v[20:21], v[6:7], s[40:41]
	v_accvgpr_write_b32 a120, v18
	v_fma_f64 v[18:19], v[252:253], s[40:41], -v[18:19]
	v_add_f64 v[10:11], v[18:19], v[10:11]
	v_fma_f64 v[18:19], s[38:39], v[234:235], v[20:21]
	v_add_f64 v[224:225], v[142:143], -v[118:119]
	v_add_f64 v[16:17], v[18:19], v[16:17]
	v_mul_f64 v[18:19], v[224:225], s[18:19]
	v_accvgpr_write_b32 a137, v21
	v_add_f64 v[250:251], v[140:141], v[116:117]
	v_add_f64 v[222:223], v[142:143], v[118:119]
	v_accvgpr_write_b32 a99, v19
	v_accvgpr_write_b32 a136, v20
	v_add_f64 v[254:255], v[140:141], -v[116:117]
	v_mul_f64 v[20:21], v[222:223], s[6:7]
	v_accvgpr_write_b32 a98, v18
	v_fma_f64 v[18:19], v[250:251], s[6:7], -v[18:19]
	v_add_f64 v[0:1], v[18:19], v[0:1]
	v_fma_f64 v[18:19], s[18:19], v[254:255], v[20:21]
	v_add_f64 v[2:3], v[18:19], v[2:3]
	v_mul_f64 v[18:19], v[224:225], s[38:39]
	v_accvgpr_write_b32 a101, v21
	v_accvgpr_write_b32 a105, v19
	s_mov_b32 s36, 0xacd6c6b4
	v_accvgpr_write_b32 a100, v20
	v_mul_f64 v[20:21], v[222:223], s[40:41]
	v_accvgpr_write_b32 a104, v18
	v_fma_f64 v[18:19], v[250:251], s[40:41], -v[18:19]
	s_mov_b32 s37, 0xbfc7851a
	v_add_f64 v[4:5], v[18:19], v[4:5]
	v_fma_f64 v[18:19], s[38:39], v[254:255], v[20:21]
	s_mov_b32 s53, 0x3fc7851a
	s_mov_b32 s52, s36
	;; [unrolled: 1-line block ×3, first 2 shown]
	v_add_f64 v[8:9], v[18:19], v[8:9]
	v_mul_f64 v[18:19], v[224:225], s[52:53]
	s_mov_b32 s35, 0xbfef7484
	v_accvgpr_write_b32 a109, v21
	v_accvgpr_write_b32 a143, v19
	;; [unrolled: 1-line block ×3, first 2 shown]
	v_mul_f64 v[20:21], v[222:223], s[34:35]
	v_accvgpr_write_b32 a142, v18
	v_fma_f64 v[18:19], v[250:251], s[34:35], -v[18:19]
	v_add_f64 v[10:11], v[18:19], v[10:11]
	v_fma_f64 v[18:19], s[52:53], v[254:255], v[20:21]
	v_accvgpr_write_b32 a155, v21
	v_add_f64 v[16:17], v[18:19], v[16:17]
	v_add_f64 v[18:19], v[146:147], -v[114:115]
	v_accvgpr_write_b32 a154, v20
	v_mul_f64 v[20:21], v[18:19], s[22:23]
	v_add_f64 v[248:249], v[144:145], v[112:113]
	v_add_f64 v[226:227], v[146:147], v[114:115]
	v_accvgpr_write_b32 a107, v21
	v_add_f64 v[240:241], v[144:145], -v[112:113]
	v_mul_f64 v[22:23], v[226:227], s[24:25]
	v_accvgpr_write_b32 a106, v20
	v_fma_f64 v[20:21], v[248:249], s[24:25], -v[20:21]
	v_add_f64 v[0:1], v[20:21], v[0:1]
	v_fma_f64 v[20:21], s[22:23], v[240:241], v[22:23]
	v_add_f64 v[20:21], v[20:21], v[2:3]
	v_mul_f64 v[2:3], v[18:19], s[36:37]
	v_accvgpr_write_b32 a111, v23
	v_accvgpr_write_b32 a117, v3
	s_mov_b32 s26, 0x923c349f
	v_accvgpr_write_b32 a110, v22
	v_mul_f64 v[22:23], v[226:227], s[34:35]
	v_accvgpr_write_b32 a116, v2
	v_fma_f64 v[2:3], v[248:249], s[34:35], -v[2:3]
	s_mov_b32 s27, 0xbfeec746
	s_mov_b32 s47, 0x3feec746
	;; [unrolled: 1-line block ×3, first 2 shown]
	v_add_f64 v[4:5], v[2:3], v[4:5]
	v_fma_f64 v[2:3], s[36:37], v[240:241], v[22:23]
	s_mov_b32 s16, 0xc61f0d01
	v_add_f64 v[8:9], v[2:3], v[8:9]
	v_mul_f64 v[2:3], v[18:19], s[46:47]
	s_mov_b32 s17, 0xbfd183b1
	v_accvgpr_write_b32 a123, v23
	v_accvgpr_write_b32 a153, v3
	;; [unrolled: 1-line block ×3, first 2 shown]
	v_mul_f64 v[22:23], v[226:227], s[16:17]
	v_accvgpr_write_b32 a152, v2
	v_fma_f64 v[2:3], v[248:249], s[16:17], -v[2:3]
	v_add_f64 v[10:11], v[2:3], v[10:11]
	v_fma_f64 v[2:3], s[46:47], v[240:241], v[22:23]
	v_accvgpr_write_b32 a165, v23
	v_add_f64 v[16:17], v[2:3], v[16:17]
	v_add_f64 v[2:3], v[150:151], -v[154:155]
	v_accvgpr_write_b32 a164, v22
	v_mul_f64 v[22:23], v[2:3], s[26:27]
	v_add_f64 v[232:233], v[148:149], v[152:153]
	v_add_f64 v[230:231], v[150:151], v[154:155]
	v_accvgpr_write_b32 a115, v23
	v_add_f64 v[246:247], v[148:149], -v[152:153]
	v_mul_f64 v[24:25], v[230:231], s[16:17]
	v_accvgpr_write_b32 a114, v22
	v_fma_f64 v[22:23], v[232:233], s[16:17], -v[22:23]
	v_add_f64 v[0:1], v[22:23], v[0:1]
	v_fma_f64 v[22:23], s[26:27], v[246:247], v[24:25]
	s_mov_b32 s42, 0x910ea3b9
	v_add_f64 v[20:21], v[22:23], v[20:21]
	v_mul_f64 v[22:23], v[2:3], s[44:45]
	s_mov_b32 s43, 0xbfeb34fa
	v_accvgpr_write_b32 a119, v25
	v_accvgpr_write_b32 a129, v23
	;; [unrolled: 1-line block ×3, first 2 shown]
	v_mul_f64 v[24:25], v[230:231], s[42:43]
	v_accvgpr_write_b32 a128, v22
	v_fma_f64 v[22:23], v[232:233], s[42:43], -v[22:23]
	s_mov_b32 s56, s30
	v_add_f64 v[4:5], v[22:23], v[4:5]
	v_fma_f64 v[22:23], s[44:45], v[246:247], v[24:25]
	v_add_f64 v[8:9], v[22:23], v[8:9]
	v_mul_f64 v[22:23], v[2:3], s[56:57]
	v_accvgpr_write_b32 a135, v25
	v_accvgpr_write_b32 a163, v23
	;; [unrolled: 1-line block ×3, first 2 shown]
	v_mul_f64 v[24:25], v[230:231], s[20:21]
	v_accvgpr_write_b32 a162, v22
	v_fma_f64 v[22:23], v[232:233], s[20:21], -v[22:23]
	v_add_f64 v[22:23], v[22:23], v[10:11]
	v_accvgpr_write_b32 a171, v25
	v_fma_f64 v[10:11], s[56:57], v[246:247], v[24:25]
	v_accvgpr_write_b32 a170, v24
	v_add_f64 v[24:25], v[10:11], v[16:17]
	v_add_f64 v[16:17], v[166:167], -v[158:159]
	v_mul_f64 v[26:27], v[16:17], s[38:39]
	v_add_f64 v[78:79], v[164:165], v[156:157]
	v_add_f64 v[10:11], v[166:167], v[158:159]
	v_accvgpr_write_b32 a127, v27
	v_add_f64 v[200:201], v[164:165], -v[156:157]
	v_mul_f64 v[28:29], v[10:11], s[40:41]
	v_accvgpr_write_b32 a126, v26
	v_fma_f64 v[26:27], v[78:79], s[40:41], -v[26:27]
	v_add_f64 v[0:1], v[26:27], v[0:1]
	v_fma_f64 v[26:27], s[38:39], v[200:201], v[28:29]
	v_add_f64 v[20:21], v[26:27], v[20:21]
	v_mul_f64 v[26:27], v[16:17], s[46:47]
	v_accvgpr_write_b32 a131, v29
	v_accvgpr_write_b32 a141, v27
	v_accvgpr_write_b32 a130, v28
	v_mul_f64 v[28:29], v[10:11], s[16:17]
	v_accvgpr_write_b32 a140, v26
	v_fma_f64 v[26:27], v[78:79], s[16:17], -v[26:27]
	v_add_f64 v[26:27], v[26:27], v[4:5]
	v_fma_f64 v[4:5], s[46:47], v[200:201], v[28:29]
	v_add_f64 v[8:9], v[4:5], v[8:9]
	v_mul_f64 v[4:5], v[16:17], s[28:29]
	v_accvgpr_write_b32 a147, v29
	v_accvgpr_write_b32 a169, v5
	;; [unrolled: 1-line block ×3, first 2 shown]
	v_mul_f64 v[28:29], v[10:11], s[0:1]
	v_accvgpr_write_b32 a168, v4
	v_fma_f64 v[4:5], v[78:79], s[0:1], -v[4:5]
	v_add_f64 v[22:23], v[4:5], v[22:23]
	v_fma_f64 v[4:5], s[28:29], v[200:201], v[28:29]
	v_accvgpr_write_b32 a173, v29
	v_add_f64 v[24:25], v[4:5], v[24:25]
	s_mov_b32 s55, 0xbfe0d888
	s_mov_b32 s54, s44
	v_add_f64 v[4:5], v[178:179], -v[162:163]
	v_accvgpr_write_b32 a172, v28
	v_mul_f64 v[28:29], v[4:5], s[54:55]
	v_add_f64 v[202:203], v[176:177], v[160:161]
	v_add_f64 v[204:205], v[178:179], v[162:163]
	v_accvgpr_write_b32 a139, v29
	v_add_f64 v[76:77], v[176:177], -v[160:161]
	v_mul_f64 v[30:31], v[204:205], s[42:43]
	v_accvgpr_write_b32 a138, v28
	v_fma_f64 v[28:29], v[202:203], s[42:43], -v[28:29]
	v_add_f64 v[28:29], v[28:29], v[0:1]
	v_fma_f64 v[0:1], s[54:55], v[76:77], v[30:31]
	s_mov_b32 s59, 0x3feca52d
	s_mov_b32 s58, s18
	v_add_f64 v[20:21], v[0:1], v[20:21]
	v_mul_f64 v[0:1], v[4:5], s[58:59]
	v_accvgpr_write_b32 a145, v31
	v_accvgpr_write_b32 a151, v1
	;; [unrolled: 1-line block ×3, first 2 shown]
	v_mul_f64 v[30:31], v[204:205], s[6:7]
	v_accvgpr_write_b32 a150, v0
	v_fma_f64 v[0:1], v[202:203], s[6:7], -v[0:1]
	v_add_f64 v[26:27], v[0:1], v[26:27]
	v_accvgpr_write_b32 a159, v31
	v_fma_f64 v[0:1], s[58:59], v[76:77], v[30:31]
	v_accvgpr_write_b32 a158, v30
	v_add_f64 v[30:31], v[0:1], v[8:9]
	v_mul_f64 v[0:1], v[4:5], s[22:23]
	v_mul_f64 v[8:9], v[204:205], s[24:25]
	v_accvgpr_write_b32 a175, v1
	v_accvgpr_write_b32 a174, v0
	v_fma_f64 v[0:1], v[202:203], s[24:25], -v[0:1]
	v_accvgpr_write_b32 a179, v9
	v_add_f64 v[22:23], v[0:1], v[22:23]
	v_accvgpr_write_b32 a178, v8
	v_fma_f64 v[0:1], s[22:23], v[76:77], v[8:9]
	v_add_f64 v[8:9], v[174:175], -v[170:171]
	v_mul_f64 v[34:35], v[8:9], s[36:37]
	v_add_f64 v[32:33], v[0:1], v[24:25]
	v_add_f64 v[242:243], v[172:173], v[168:169]
	;; [unrolled: 1-line block ×3, first 2 shown]
	v_accvgpr_write_b32 a149, v35
	v_add_f64 v[0:1], v[172:173], -v[168:169]
	v_mul_f64 v[36:37], v[24:25], s[34:35]
	v_accvgpr_write_b32 a148, v34
	v_fma_f64 v[34:35], v[242:243], s[34:35], -v[34:35]
	s_mov_b32 s49, 0x3fd71e95
	s_mov_b32 s48, s28
	v_add_f64 v[188:189], v[34:35], v[28:29]
	v_fma_f64 v[28:29], s[36:37], v[0:1], v[36:37]
	v_add_f64 v[190:191], v[28:29], v[20:21]
	v_mul_f64 v[20:21], v[8:9], s[48:49]
	v_accvgpr_write_b32 a161, v21
	v_mul_f64 v[28:29], v[24:25], s[0:1]
	v_accvgpr_write_b32 a160, v20
	v_fma_f64 v[20:21], v[242:243], s[0:1], -v[20:21]
	v_add_f64 v[180:181], v[20:21], v[26:27]
	v_fma_f64 v[20:21], s[48:49], v[0:1], v[28:29]
	v_add_f64 v[182:183], v[20:21], v[30:31]
	v_mul_f64 v[20:21], v[8:9], s[54:55]
	v_accvgpr_write_b32 a177, v21
	v_mul_f64 v[26:27], v[24:25], s[42:43]
	v_accvgpr_write_b32 a176, v20
	v_fma_f64 v[20:21], v[242:243], s[42:43], -v[20:21]
	v_add_f64 v[184:185], v[20:21], v[22:23]
	v_fma_f64 v[20:21], s[54:55], v[0:1], v[26:27]
	v_add_f64 v[186:187], v[20:21], v[32:33]
	v_mul_f64 v[20:21], v[218:219], s[36:37]
	v_accvgpr_write_b32 a189, v21
	v_accvgpr_write_b32 a188, v20
	v_fma_f64 v[20:21], v[252:253], s[34:35], -v[20:21]
	v_add_f64 v[14:15], v[20:21], v[14:15]
	v_mul_f64 v[20:21], v[6:7], s[34:35]
	v_accvgpr_write_b32 a203, v21
	v_accvgpr_write_b32 a202, v20
	v_fma_f64 v[20:21], s[36:37], v[234:235], v[20:21]
	v_add_f64 v[12:13], v[20:21], v[12:13]
	v_mul_f64 v[20:21], v[224:225], s[46:47]
	v_accvgpr_write_b32 a197, v21
	v_accvgpr_write_b32 a196, v20
	v_fma_f64 v[20:21], v[250:251], s[16:17], -v[20:21]
	v_add_f64 v[14:15], v[20:21], v[14:15]
	v_mul_f64 v[20:21], v[222:223], s[16:17]
	v_accvgpr_write_b32 a209, v21
	v_accvgpr_write_b32 a208, v20
	;; [unrolled: 10-line block ×3, first 2 shown]
	v_fma_f64 v[22:23], s[48:49], v[240:241], v[12:13]
	v_mul_f64 v[12:13], v[2:3], s[18:19]
	v_add_f64 v[20:21], v[22:23], v[20:21]
	v_fma_f64 v[22:23], v[232:233], s[6:7], -v[12:13]
	v_add_f64 v[14:15], v[22:23], v[14:15]
	v_mul_f64 v[22:23], v[230:231], s[6:7]
	v_accvgpr_write_b32 a215, v23
	v_accvgpr_write_b32 a214, v22
	v_fma_f64 v[22:23], s[18:19], v[246:247], v[22:23]
	v_add_f64 v[20:21], v[22:23], v[20:21]
	v_mul_f64 v[22:23], v[16:17], s[54:55]
	v_accvgpr_write_b32 a205, v23
	v_accvgpr_write_b32 a204, v22
	v_fma_f64 v[22:23], v[78:79], s[42:43], -v[22:23]
	v_add_f64 v[14:15], v[22:23], v[14:15]
	v_mul_f64 v[22:23], v[10:11], s[42:43]
	v_accvgpr_write_b32 a217, v23
	v_accvgpr_write_b32 a216, v22
	v_fma_f64 v[22:23], s[54:55], v[200:201], v[22:23]
	s_mov_b32 s60, s38
	v_add_f64 v[20:21], v[22:23], v[20:21]
	v_mul_f64 v[22:23], v[4:5], s[60:61]
	v_accvgpr_write_b32 a211, v23
	v_accvgpr_write_b32 a210, v22
	v_fma_f64 v[22:23], v[202:203], s[40:41], -v[22:23]
	v_mul_f64 v[214:215], v[204:205], s[40:41]
	v_add_f64 v[22:23], v[22:23], v[14:15]
	v_fma_f64 v[14:15], s[60:61], v[76:77], v[214:215]
	v_accvgpr_write_b32 a185, v27
	v_add_f64 v[20:21], v[14:15], v[20:21]
	v_mul_f64 v[14:15], v[8:9], s[56:57]
	v_accvgpr_write_b32 a184, v26
	v_fma_f64 v[26:27], v[242:243], s[20:21], -v[14:15]
	v_mul_f64 v[206:207], v[24:25], s[20:21]
	v_add_f64 v[196:197], v[26:27], v[22:23]
	v_fma_f64 v[22:23], s[56:57], v[0:1], v[206:207]
	v_mul_f64 v[244:245], v[216:217], s[26:27]
	v_add_f64 v[198:199], v[22:23], v[20:21]
	v_fma_f64 v[20:21], v[236:237], s[16:17], -v[244:245]
	v_accvgpr_write_b32 a167, v29
	v_add_f64 v[22:23], v[128:129], v[20:21]
	v_mul_f64 v[20:21], v[218:219], s[44:45]
	v_accvgpr_write_b32 a166, v28
	v_fma_f64 v[26:27], v[252:253], s[42:43], -v[20:21]
	v_mul_f64 v[28:29], v[220:221], s[16:17]
	v_add_f64 v[26:27], v[26:27], v[22:23]
	v_fma_f64 v[22:23], s[26:27], v[238:239], v[28:29]
	v_mul_f64 v[32:33], v[6:7], s[42:43]
	v_add_f64 v[22:23], v[130:131], v[22:23]
	v_fma_f64 v[30:31], s[44:45], v[234:235], v[32:33]
	v_add_f64 v[30:31], v[30:31], v[22:23]
	v_mul_f64 v[22:23], v[224:225], s[56:57]
	v_fma_f64 v[34:35], v[250:251], s[20:21], -v[22:23]
	v_mul_f64 v[208:209], v[222:223], s[20:21]
	v_add_f64 v[34:35], v[34:35], v[26:27]
	v_fma_f64 v[26:27], s[56:57], v[254:255], v[208:209]
	v_accvgpr_write_b32 a157, v37
	v_add_f64 v[30:31], v[26:27], v[30:31]
	v_mul_f64 v[26:27], v[18:19], s[18:19]
	v_accvgpr_write_b32 a156, v36
	v_fma_f64 v[36:37], v[248:249], s[6:7], -v[26:27]
	v_mul_f64 v[38:39], v[226:227], s[6:7]
	v_add_f64 v[34:35], v[36:37], v[34:35]
	v_fma_f64 v[36:37], s[18:19], v[240:241], v[38:39]
	v_add_f64 v[36:37], v[36:37], v[30:31]
	v_mul_f64 v[30:31], v[2:3], s[36:37]
	v_fma_f64 v[40:41], v[232:233], s[34:35], -v[30:31]
	v_mul_f64 v[42:43], v[230:231], s[34:35]
	v_add_f64 v[40:41], v[40:41], v[34:35]
	v_fma_f64 v[34:35], s[36:37], v[246:247], v[42:43]
	s_mov_b32 s63, 0x3fefdd0d
	s_mov_b32 s62, s22
	v_add_f64 v[36:37], v[34:35], v[36:37]
	v_mul_f64 v[34:35], v[16:17], s[62:63]
	v_fma_f64 v[44:45], v[78:79], s[24:25], -v[34:35]
	v_add_f64 v[40:41], v[44:45], v[40:41]
	v_mul_f64 v[44:45], v[10:11], s[24:25]
	v_fma_f64 v[46:47], s[62:63], v[200:201], v[44:45]
	v_add_f64 v[48:49], v[46:47], v[36:37]
	v_mul_f64 v[36:37], v[4:5], s[28:29]
	v_fma_f64 v[46:47], v[202:203], s[0:1], -v[36:37]
	v_add_f64 v[192:193], v[46:47], v[40:41]
	v_mul_f64 v[46:47], v[204:205], s[0:1]
	v_fma_f64 v[40:41], s[28:29], v[76:77], v[46:47]
	;; [unrolled: 6-line block ×3, first 2 shown]
	v_add_f64 v[194:195], v[52:53], v[194:195]
	s_barrier
	s_and_saveexec_b64 s[50:51], s[4:5]
	s_cbranch_execz .LBB0_17
; %bb.16:
	v_mul_f64 v[52:53], v[238:239], s[36:37]
	v_accvgpr_write_b32 a187, v55
	v_accvgpr_write_b32 a186, v54
	v_fma_f64 v[54:55], s[34:35], v[220:221], v[52:53]
	v_accvgpr_write_b32 a3, v210
	v_accvgpr_write_b32 a5, v211
	v_mul_f64 v[210:211], v[234:235], s[48:49]
	v_accvgpr_write_b32 a191, v57
	v_add_f64 v[54:55], v[130:131], v[54:55]
	v_accvgpr_write_b32 a190, v56
	v_fma_f64 v[56:57], s[0:1], v[6:7], v[210:211]
	v_add_f64 v[54:55], v[56:57], v[54:55]
	v_mul_f64 v[56:57], v[254:255], s[54:55]
	v_accvgpr_write_b32 a201, v59
	v_accvgpr_write_b32 a200, v58
	v_fma_f64 v[58:59], s[42:43], v[222:223], v[56:57]
	v_add_f64 v[54:55], v[58:59], v[54:55]
	v_mul_f64 v[58:59], v[240:241], s[56:57]
	v_accvgpr_write_b32 a229, v13
	;; [unrolled: 5-line block ×4, first 2 shown]
	v_fma_f64 v[228:229], s[6:7], v[10:11], v[14:15]
	v_add_f64 v[12:13], v[228:229], v[12:13]
	v_mul_f64 v[228:229], v[76:77], s[26:27]
	v_accvgpr_write_b32 a90, v212
	v_fma_f64 v[212:213], s[16:17], v[204:205], v[228:229]
	v_add_f64 v[12:13], v[212:213], v[12:13]
	v_mul_f64 v[212:213], v[216:217], s[36:37]
	v_accvgpr_write_b32 a81, v63
	v_accvgpr_write_b32 a80, v62
	;; [unrolled: 1-line block ×4, first 2 shown]
	v_fma_f64 v[60:61], v[236:237], s[34:35], -v[212:213]
	v_mul_f64 v[62:63], v[218:219], s[48:49]
	v_accvgpr_write_b32 a219, v65
	v_add_f64 v[60:61], v[128:129], v[60:61]
	v_accvgpr_write_b32 a218, v64
	v_fma_f64 v[64:65], v[252:253], s[0:1], -v[62:63]
	v_add_f64 v[60:61], v[64:65], v[60:61]
	v_mul_f64 v[64:65], v[224:225], s[54:55]
	v_accvgpr_write_b32 a66, v66
	v_accvgpr_write_b32 a67, v67
	;; [unrolled: 1-line block ×4, first 2 shown]
	v_fma_f64 v[66:67], v[250:251], s[42:43], -v[64:65]
	v_add_f64 v[60:61], v[66:67], v[60:61]
	v_mul_f64 v[66:67], v[18:19], s[56:57]
	v_fma_f64 v[68:69], v[248:249], s[20:21], -v[66:67]
	v_add_f64 v[60:61], v[68:69], v[60:61]
	v_mul_f64 v[68:69], v[2:3], s[38:39]
	v_accvgpr_write_b32 a70, v70
	v_accvgpr_write_b32 a71, v71
	;; [unrolled: 1-line block ×4, first 2 shown]
	v_fma_f64 v[70:71], v[232:233], s[40:41], -v[68:69]
	v_add_f64 v[60:61], v[70:71], v[60:61]
	v_mul_f64 v[70:71], v[16:17], s[58:59]
	v_fma_f64 v[72:73], v[78:79], s[6:7], -v[70:71]
	v_add_f64 v[60:61], v[72:73], v[60:61]
	v_mul_f64 v[72:73], v[4:5], s[26:27]
	v_accvgpr_write_b32 a207, v75
	v_accvgpr_write_b32 a206, v74
	v_fma_f64 v[74:75], v[202:203], s[16:17], -v[72:73]
	v_add_f64 v[60:61], v[74:75], v[60:61]
	v_mul_f64 v[74:75], v[0:1], s[62:63]
	v_accvgpr_write_b32 a74, v80
	v_accvgpr_write_b32 a75, v81
	;; [unrolled: 1-line block ×4, first 2 shown]
	v_fma_f64 v[80:81], s[24:25], v[24:25], v[74:75]
	v_add_f64 v[82:83], v[80:81], v[12:13]
	v_mul_f64 v[12:13], v[8:9], s[62:63]
	v_fma_f64 v[80:81], v[242:243], s[24:25], -v[12:13]
	v_fma_f64 v[52:53], v[220:221], s[34:35], -v[52:53]
	v_add_f64 v[80:81], v[80:81], v[60:61]
	v_fma_f64 v[60:61], v[6:7], s[0:1], -v[210:211]
	v_add_f64 v[52:53], v[130:131], v[52:53]
	v_add_f64 v[52:53], v[60:61], v[52:53]
	v_fma_f64 v[56:57], v[222:223], s[42:43], -v[56:57]
	v_add_f64 v[52:53], v[56:57], v[52:53]
	v_fma_f64 v[56:57], v[226:227], s[20:21], -v[58:59]
	;; [unrolled: 2-line block ×5, first 2 shown]
	v_fmac_f64_e32 v[212:213], s[34:35], v[236:237]
	v_add_f64 v[14:15], v[52:53], v[14:15]
	v_fmac_f64_e32 v[62:63], s[0:1], v[252:253]
	v_add_f64 v[52:53], v[128:129], v[212:213]
	v_add_f64 v[52:53], v[62:63], v[52:53]
	v_fmac_f64_e32 v[64:65], s[42:43], v[250:251]
	v_add_f64 v[52:53], v[64:65], v[52:53]
	v_fmac_f64_e32 v[66:67], s[20:21], v[248:249]
	v_add_f64 v[52:53], v[66:67], v[52:53]
	v_fmac_f64_e32 v[68:69], s[40:41], v[232:233]
	v_add_f64 v[52:53], v[68:69], v[52:53]
	v_fmac_f64_e32 v[70:71], s[6:7], v[78:79]
	v_add_f64 v[52:53], v[70:71], v[52:53]
	v_fmac_f64_e32 v[72:73], s[16:17], v[202:203]
	v_fma_f64 v[54:55], v[24:25], s[24:25], -v[74:75]
	v_add_f64 v[52:53], v[72:73], v[52:53]
	v_add_f64 v[14:15], v[54:55], v[14:15]
	v_fmac_f64_e32 v[12:13], s[24:25], v[242:243]
	v_add_f64 v[12:13], v[12:13], v[52:53]
	v_accvgpr_write_b32 a195, v15
	v_accvgpr_write_b32 a194, v14
	;; [unrolled: 1-line block ×4, first 2 shown]
	v_mul_f64 v[12:13], v[238:239], s[54:55]
	v_fma_f64 v[14:15], s[42:43], v[220:221], v[12:13]
	v_mul_f64 v[52:53], v[234:235], s[58:59]
	v_add_f64 v[14:15], v[130:131], v[14:15]
	v_fma_f64 v[54:55], s[6:7], v[6:7], v[52:53]
	v_add_f64 v[14:15], v[54:55], v[14:15]
	v_mul_f64 v[54:55], v[254:255], s[22:23]
	v_fma_f64 v[56:57], s[24:25], v[222:223], v[54:55]
	v_add_f64 v[14:15], v[56:57], v[14:15]
	v_mul_f64 v[56:57], v[240:241], s[60:61]
	;; [unrolled: 3-line block ×6, first 2 shown]
	v_fma_f64 v[66:67], v[236:237], s[42:43], -v[64:65]
	v_mul_f64 v[68:69], v[218:219], s[58:59]
	v_add_f64 v[66:67], v[128:129], v[66:67]
	v_fma_f64 v[70:71], v[252:253], s[6:7], -v[68:69]
	v_add_f64 v[66:67], v[70:71], v[66:67]
	v_mul_f64 v[70:71], v[224:225], s[22:23]
	v_fma_f64 v[12:13], v[220:221], s[42:43], -v[12:13]
	v_fma_f64 v[72:73], v[250:251], s[24:25], -v[70:71]
	;; [unrolled: 1-line block ×3, first 2 shown]
	v_add_f64 v[12:13], v[130:131], v[12:13]
	v_add_f64 v[66:67], v[72:73], v[66:67]
	v_mul_f64 v[72:73], v[18:19], s[60:61]
	v_add_f64 v[12:13], v[52:53], v[12:13]
	v_fma_f64 v[52:53], v[222:223], s[24:25], -v[54:55]
	v_fma_f64 v[74:75], v[248:249], s[40:41], -v[72:73]
	v_add_f64 v[12:13], v[52:53], v[12:13]
	v_fma_f64 v[52:53], v[226:227], s[40:41], -v[56:57]
	v_accvgpr_write_b32 a183, v83
	v_add_f64 v[66:67], v[74:75], v[66:67]
	v_mul_f64 v[74:75], v[2:3], s[28:29]
	v_add_f64 v[12:13], v[52:53], v[12:13]
	v_fma_f64 v[52:53], v[230:231], s[0:1], -v[58:59]
	v_accvgpr_write_b32 a182, v82
	v_accvgpr_write_b32 a181, v81
	;; [unrolled: 1-line block ×3, first 2 shown]
	v_fma_f64 v[80:81], v[232:233], s[0:1], -v[74:75]
	v_add_f64 v[12:13], v[52:53], v[12:13]
	v_fma_f64 v[52:53], v[10:11], s[34:35], -v[60:61]
	v_add_f64 v[66:67], v[80:81], v[66:67]
	v_mul_f64 v[80:81], v[16:17], s[36:37]
	v_add_f64 v[12:13], v[52:53], v[12:13]
	v_fma_f64 v[52:53], v[204:205], s[20:21], -v[62:63]
	v_fmac_f64_e32 v[64:65], s[42:43], v[236:237]
	v_fma_f64 v[82:83], v[78:79], s[34:35], -v[80:81]
	v_add_f64 v[12:13], v[52:53], v[12:13]
	v_fmac_f64_e32 v[68:69], s[6:7], v[252:253]
	v_add_f64 v[52:53], v[128:129], v[64:65]
	v_add_f64 v[66:67], v[82:83], v[66:67]
	v_mul_f64 v[82:83], v[4:5], s[56:57]
	v_add_f64 v[52:53], v[68:69], v[52:53]
	v_fmac_f64_e32 v[70:71], s[24:25], v[250:251]
	v_fma_f64 v[210:211], v[202:203], s[20:21], -v[82:83]
	v_add_f64 v[52:53], v[70:71], v[52:53]
	v_fmac_f64_e32 v[72:73], s[40:41], v[248:249]
	v_add_f64 v[66:67], v[210:211], v[66:67]
	v_mul_f64 v[210:211], v[0:1], s[26:27]
	v_add_f64 v[52:53], v[72:73], v[52:53]
	v_fmac_f64_e32 v[74:75], s[0:1], v[232:233]
	v_fma_f64 v[212:213], s[16:17], v[24:25], v[210:211]
	v_accvgpr_write_b32 a227, v87
	v_add_f64 v[52:53], v[74:75], v[52:53]
	v_fmac_f64_e32 v[80:81], s[34:35], v[78:79]
	v_accvgpr_write_b32 a226, v86
	v_accvgpr_write_b32 a225, v85
	;; [unrolled: 1-line block ×3, first 2 shown]
	v_add_f64 v[86:87], v[212:213], v[14:15]
	v_mul_f64 v[14:15], v[8:9], s[26:27]
	v_add_f64 v[52:53], v[80:81], v[52:53]
	v_fmac_f64_e32 v[82:83], s[20:21], v[202:203]
	v_fma_f64 v[54:55], v[24:25], s[16:17], -v[210:211]
	v_fma_f64 v[212:213], v[242:243], s[16:17], -v[14:15]
	v_add_f64 v[52:53], v[82:83], v[52:53]
	v_accvgpr_read_b32 v83, a77
	v_add_f64 v[54:55], v[54:55], v[12:13]
	v_fmac_f64_e32 v[14:15], s[16:17], v[242:243]
	v_accvgpr_read_b32 v82, a76
	v_accvgpr_read_b32 v81, a75
	;; [unrolled: 1-line block ×3, first 2 shown]
	v_add_f64 v[52:53], v[14:15], v[52:53]
	v_accvgpr_write_b32 a77, v55
	v_mul_f64 v[12:13], v[238:239], s[38:39]
	v_accvgpr_write_b32 a76, v54
	v_accvgpr_write_b32 a75, v53
	;; [unrolled: 1-line block ×3, first 2 shown]
	v_fma_f64 v[14:15], s[40:41], v[220:221], v[12:13]
	v_mul_f64 v[52:53], v[234:235], s[46:47]
	v_add_f64 v[14:15], v[130:131], v[14:15]
	v_fma_f64 v[54:55], s[16:17], v[6:7], v[52:53]
	v_add_f64 v[14:15], v[54:55], v[14:15]
	v_mul_f64 v[54:55], v[254:255], s[28:29]
	v_fma_f64 v[56:57], s[0:1], v[222:223], v[54:55]
	v_add_f64 v[14:15], v[56:57], v[14:15]
	v_mul_f64 v[56:57], v[240:241], s[54:55]
	;; [unrolled: 3-line block ×5, first 2 shown]
	v_add_f64 v[84:85], v[212:213], v[66:67]
	v_fma_f64 v[64:65], s[34:35], v[204:205], v[62:63]
	v_mul_f64 v[66:67], v[216:217], s[38:39]
	v_add_f64 v[14:15], v[64:65], v[14:15]
	v_mul_f64 v[64:65], v[218:219], s[46:47]
	v_fma_f64 v[68:69], v[236:237], s[40:41], -v[66:67]
	v_add_f64 v[68:69], v[128:129], v[68:69]
	v_fma_f64 v[70:71], v[252:253], s[16:17], -v[64:65]
	v_fma_f64 v[12:13], v[220:221], s[40:41], -v[12:13]
	v_add_f64 v[68:69], v[70:71], v[68:69]
	v_mul_f64 v[70:71], v[224:225], s[28:29]
	v_fma_f64 v[6:7], v[6:7], s[16:17], -v[52:53]
	v_add_f64 v[12:13], v[130:131], v[12:13]
	v_fma_f64 v[72:73], v[250:251], s[0:1], -v[70:71]
	v_mul_f64 v[18:19], v[18:19], s[54:55]
	v_fma_f64 v[54:55], v[222:223], s[0:1], -v[54:55]
	v_add_f64 v[6:7], v[6:7], v[12:13]
	v_add_f64 v[68:69], v[72:73], v[68:69]
	v_fma_f64 v[72:73], v[248:249], s[42:43], -v[18:19]
	v_mul_f64 v[2:3], v[2:3], s[62:63]
	v_fma_f64 v[56:57], v[226:227], s[42:43], -v[56:57]
	v_add_f64 v[6:7], v[54:55], v[6:7]
	v_add_f64 v[68:69], v[72:73], v[68:69]
	v_fma_f64 v[72:73], v[232:233], s[24:25], -v[2:3]
	v_mul_f64 v[16:17], v[16:17], s[30:31]
	v_fma_f64 v[58:59], v[230:231], s[24:25], -v[58:59]
	v_add_f64 v[6:7], v[56:57], v[6:7]
	v_add_f64 v[68:69], v[72:73], v[68:69]
	v_fma_f64 v[72:73], v[78:79], s[20:21], -v[16:17]
	v_mul_f64 v[4:5], v[4:5], s[36:37]
	v_fma_f64 v[10:11], v[10:11], s[20:21], -v[60:61]
	v_add_f64 v[6:7], v[58:59], v[6:7]
	v_fmac_f64_e32 v[66:67], s[40:41], v[236:237]
	v_add_f64 v[68:69], v[72:73], v[68:69]
	v_fma_f64 v[72:73], v[202:203], s[34:35], -v[4:5]
	v_add_f64 v[6:7], v[10:11], v[6:7]
	v_fmac_f64_e32 v[64:65], s[16:17], v[252:253]
	v_add_f64 v[10:11], v[128:129], v[66:67]
	v_add_f64 v[68:69], v[72:73], v[68:69]
	v_mul_f64 v[72:73], v[0:1], s[58:59]
	v_add_f64 v[10:11], v[64:65], v[10:11]
	v_fmac_f64_e32 v[70:71], s[0:1], v[250:251]
	v_fma_f64 v[74:75], s[6:7], v[24:25], v[72:73]
	v_mul_f64 v[8:9], v[8:9], s[58:59]
	v_add_f64 v[10:11], v[70:71], v[10:11]
	v_fmac_f64_e32 v[18:19], s[42:43], v[248:249]
	v_add_f64 v[218:219], v[74:75], v[14:15]
	v_fma_f64 v[14:15], v[242:243], s[6:7], -v[8:9]
	v_add_f64 v[10:11], v[18:19], v[10:11]
	v_fmac_f64_e32 v[2:3], s[24:25], v[232:233]
	v_add_f64 v[216:217], v[14:15], v[68:69]
	v_fma_f64 v[14:15], v[24:25], s[6:7], -v[72:73]
	v_fma_f64 v[24:25], v[204:205], s[34:35], -v[62:63]
	v_add_f64 v[2:3], v[2:3], v[10:11]
	v_fmac_f64_e32 v[16:17], s[20:21], v[78:79]
	v_add_f64 v[6:7], v[24:25], v[6:7]
	v_add_f64 v[2:3], v[16:17], v[2:3]
	v_mul_f64 v[16:17], v[238:239], s[26:27]
	v_mul_f64 v[18:19], v[252:253], s[42:43]
	v_add_f64 v[222:223], v[14:15], v[6:7]
	v_mul_f64 v[14:15], v[234:235], s[44:45]
	v_add_f64 v[16:17], v[28:29], -v[16:17]
	v_add_f64 v[18:19], v[18:19], v[20:21]
	v_mul_f64 v[20:21], v[236:237], s[16:17]
	v_fmac_f64_e32 v[4:5], s[34:35], v[202:203]
	v_mul_f64 v[12:13], v[254:255], s[56:57]
	v_add_f64 v[14:15], v[32:33], -v[14:15]
	v_add_f64 v[16:17], v[130:131], v[16:17]
	v_add_f64 v[20:21], v[20:21], v[244:245]
	;; [unrolled: 1-line block ×3, first 2 shown]
	v_fmac_f64_e32 v[8:9], s[6:7], v[242:243]
	v_mul_f64 v[10:11], v[240:241], s[18:19]
	v_add_f64 v[12:13], v[208:209], -v[12:13]
	v_add_f64 v[14:15], v[14:15], v[16:17]
	v_mul_f64 v[16:17], v[250:251], s[20:21]
	v_add_f64 v[20:21], v[128:129], v[20:21]
	v_add_f64 v[220:221], v[8:9], v[2:3]
	v_mul_f64 v[8:9], v[246:247], s[36:37]
	v_add_f64 v[10:11], v[38:39], -v[10:11]
	v_add_f64 v[12:13], v[12:13], v[14:15]
	v_mul_f64 v[14:15], v[248:249], s[6:7]
	v_add_f64 v[16:17], v[16:17], v[22:23]
	v_add_f64 v[18:19], v[18:19], v[20:21]
	;; [unrolled: 6-line block ×4, first 2 shown]
	v_add_f64 v[4:5], v[46:47], -v[4:5]
	v_add_f64 v[6:7], v[6:7], v[8:9]
	v_mul_f64 v[8:9], v[202:203], s[0:1]
	v_add_f64 v[10:11], v[10:11], v[34:35]
	v_add_f64 v[12:13], v[12:13], v[14:15]
	;; [unrolled: 1-line block ×3, first 2 shown]
	v_mul_f64 v[6:7], v[242:243], s[40:41]
	v_add_f64 v[8:9], v[8:9], v[36:37]
	v_add_f64 v[10:11], v[10:11], v[12:13]
	;; [unrolled: 1-line block ×5, first 2 shown]
	v_accvgpr_read_b32 v8, a216
	v_mul_f64 v[6:7], v[200:201], s[54:55]
	v_accvgpr_read_b32 v9, a217
	v_accvgpr_read_b32 v10, a214
	v_add_f64 v[6:7], v[8:9], -v[6:7]
	v_mul_f64 v[8:9], v[246:247], s[18:19]
	v_accvgpr_read_b32 v11, a215
	v_accvgpr_read_b32 v12, a212
	v_add_f64 v[8:9], v[10:11], -v[8:9]
	;; [unrolled: 4-line block ×5, first 2 shown]
	v_mul_f64 v[16:17], v[238:239], s[22:23]
	v_accvgpr_read_b32 v19, a133
	v_add_f64 v[16:17], v[18:19], -v[16:17]
	v_add_f64 v[16:17], v[130:131], v[16:17]
	v_add_f64 v[14:15], v[14:15], v[16:17]
	v_mul_f64 v[2:3], v[0:1], s[38:39]
	v_add_f64 v[12:13], v[12:13], v[14:15]
	v_add_f64 v[2:3], v[48:49], -v[2:3]
	v_add_f64 v[10:11], v[10:11], v[12:13]
	v_add_f64 v[226:227], v[2:3], v[4:5]
	v_mul_f64 v[4:5], v[76:77], s[60:61]
	v_add_f64 v[8:9], v[8:9], v[10:11]
	v_add_f64 v[4:5], v[214:215], -v[4:5]
	v_add_f64 v[6:7], v[6:7], v[8:9]
	v_accvgpr_read_b32 v8, a230
	v_add_f64 v[4:5], v[4:5], v[6:7]
	v_mul_f64 v[6:7], v[242:243], s[20:21]
	v_accvgpr_read_b32 v9, a231
	v_accvgpr_read_b32 v10, a210
	v_add_f64 v[6:7], v[6:7], v[8:9]
	v_mul_f64 v[8:9], v[202:203], s[40:41]
	v_accvgpr_read_b32 v11, a211
	;; [unrolled: 4-line block ×8, first 2 shown]
	v_add_f64 v[20:21], v[20:21], v[22:23]
	v_add_f64 v[20:21], v[128:129], v[20:21]
	;; [unrolled: 1-line block ×5, first 2 shown]
	v_mul_f64 v[2:3], v[0:1], s[56:57]
	v_add_f64 v[12:13], v[12:13], v[14:15]
	v_add_f64 v[2:3], v[206:207], -v[2:3]
	v_add_f64 v[10:11], v[10:11], v[12:13]
	v_add_f64 v[8:9], v[8:9], v[10:11]
	;; [unrolled: 1-line block ×3, first 2 shown]
	v_accvgpr_read_b32 v4, a184
	v_add_f64 v[228:229], v[6:7], v[8:9]
	v_mul_f64 v[2:3], v[0:1], s[54:55]
	v_accvgpr_read_b32 v5, a185
	v_accvgpr_read_b32 v6, a178
	v_add_f64 v[2:3], v[4:5], -v[2:3]
	v_mul_f64 v[4:5], v[76:77], s[22:23]
	v_accvgpr_read_b32 v7, a179
	v_accvgpr_read_b32 v8, a172
	v_add_f64 v[4:5], v[6:7], -v[4:5]
	;; [unrolled: 4-line block ×3, first 2 shown]
	v_mul_f64 v[8:9], v[246:247], s[56:57]
	v_accvgpr_read_b32 v11, a171
	v_accvgpr_read_b32 v12, a164
	;; [unrolled: 1-line block ×3, first 2 shown]
	v_add_f64 v[8:9], v[10:11], -v[8:9]
	v_mul_f64 v[10:11], v[240:241], s[46:47]
	v_accvgpr_read_b32 v13, a165
	v_accvgpr_read_b32 v14, a154
	v_mul_f64 v[58:59], v[200:201], s[46:47]
	v_accvgpr_read_b32 v75, a147
	v_add_f64 v[10:11], v[12:13], -v[10:11]
	v_mul_f64 v[12:13], v[254:255], s[52:53]
	v_accvgpr_read_b32 v15, a155
	v_accvgpr_read_b32 v16, a136
	v_add_f64 v[58:59], v[74:75], -v[58:59]
	v_accvgpr_read_b32 v74, a134
	v_add_f64 v[12:13], v[14:15], -v[12:13]
	v_mul_f64 v[14:15], v[234:235], s[38:39]
	v_accvgpr_read_b32 v17, a137
	v_accvgpr_read_b32 v18, a112
	v_mul_f64 v[54:55], v[246:247], s[44:45]
	v_accvgpr_read_b32 v75, a135
	v_add_f64 v[14:15], v[16:17], -v[14:15]
	v_mul_f64 v[16:17], v[238:239], s[18:19]
	v_accvgpr_read_b32 v19, a113
	v_add_f64 v[54:55], v[74:75], -v[54:55]
	v_accvgpr_read_b32 v74, a122
	v_add_f64 v[16:17], v[18:19], -v[16:17]
	v_mul_f64 v[48:49], v[240:241], s[36:37]
	v_accvgpr_read_b32 v75, a123
	v_add_f64 v[16:17], v[130:131], v[16:17]
	v_add_f64 v[48:49], v[74:75], -v[48:49]
	v_accvgpr_read_b32 v74, a108
	v_add_f64 v[14:15], v[14:15], v[16:17]
	v_mul_f64 v[44:45], v[254:255], s[38:39]
	v_accvgpr_read_b32 v75, a109
	v_add_f64 v[12:13], v[12:13], v[14:15]
	v_add_f64 v[44:45], v[74:75], -v[44:45]
	v_accvgpr_read_b32 v74, a96
	v_add_f64 v[10:11], v[10:11], v[12:13]
	v_mul_f64 v[34:35], v[234:235], s[22:23]
	v_accvgpr_read_b32 v75, a97
	v_add_f64 v[8:9], v[8:9], v[10:11]
	v_add_f64 v[34:35], v[74:75], -v[34:35]
	v_accvgpr_read_b32 v74, a218
	v_mul_f64 v[18:19], v[238:239], s[30:31]
	v_add_f64 v[6:7], v[6:7], v[8:9]
	v_accvgpr_read_b32 v8, a176
	v_accvgpr_read_b32 v75, a219
	v_add_f64 v[4:5], v[4:5], v[6:7]
	v_mul_f64 v[6:7], v[242:243], s[42:43]
	v_accvgpr_read_b32 v9, a177
	v_accvgpr_read_b32 v24, a174
	v_add_f64 v[18:19], v[74:75], -v[18:19]
	v_add_f64 v[6:7], v[6:7], v[8:9]
	v_mul_f64 v[8:9], v[202:203], s[24:25]
	v_accvgpr_read_b32 v25, a175
	v_accvgpr_read_b32 v26, a168
	v_add_f64 v[18:19], v[130:131], v[18:19]
	v_add_f64 v[8:9], v[8:9], v[24:25]
	v_mul_f64 v[24:25], v[78:79], s[0:1]
	v_accvgpr_read_b32 v27, a169
	v_accvgpr_read_b32 v28, a162
	;; [unrolled: 1-line block ×3, first 2 shown]
	v_add_f64 v[18:19], v[34:35], v[18:19]
	v_mul_f64 v[20:21], v[236:237], s[6:7]
	v_add_f64 v[24:25], v[24:25], v[26:27]
	v_mul_f64 v[26:27], v[232:233], s[20:21]
	v_accvgpr_read_b32 v29, a163
	v_accvgpr_read_b32 v30, a152
	v_accvgpr_read_b32 v38, a120
	v_accvgpr_read_b32 v41, a103
	v_add_f64 v[18:19], v[44:45], v[18:19]
	v_add_f64 v[26:27], v[26:27], v[28:29]
	v_mul_f64 v[28:29], v[248:249], s[16:17]
	v_accvgpr_read_b32 v31, a153
	v_accvgpr_read_b32 v32, a142
	v_mul_f64 v[36:37], v[252:253], s[40:41]
	v_accvgpr_read_b32 v39, a121
	v_add_f64 v[20:21], v[20:21], v[40:41]
	v_add_f64 v[18:19], v[48:49], v[18:19]
	v_accvgpr_read_b32 v48, a116
	v_add_f64 v[28:29], v[28:29], v[30:31]
	v_mul_f64 v[30:31], v[250:251], s[34:35]
	v_accvgpr_read_b32 v33, a143
	v_add_f64 v[36:37], v[36:37], v[38:39]
	v_add_f64 v[20:21], v[128:129], v[20:21]
	v_mul_f64 v[46:47], v[248:249], s[34:35]
	v_accvgpr_read_b32 v49, a117
	v_add_f64 v[30:31], v[30:31], v[32:33]
	v_add_f64 v[20:21], v[36:37], v[20:21]
	;; [unrolled: 1-line block ×3, first 2 shown]
	v_accvgpr_read_b32 v48, a104
	v_mul_f64 v[42:43], v[250:251], s[40:41]
	v_add_f64 v[20:21], v[30:31], v[20:21]
	v_accvgpr_read_b32 v49, a105
	v_add_f64 v[20:21], v[28:29], v[20:21]
	v_add_f64 v[42:43], v[42:43], v[48:49]
	v_accvgpr_read_b32 v48, a94
	v_mul_f64 v[32:33], v[252:253], s[24:25]
	v_add_f64 v[20:21], v[26:27], v[20:21]
	v_accvgpr_read_b32 v49, a95
	v_add_f64 v[20:21], v[24:25], v[20:21]
	v_add_f64 v[32:33], v[32:33], v[48:49]
	;; [unrolled: 6-line block ×3, first 2 shown]
	v_accvgpr_read_b32 v8, a166
	v_add_f64 v[12:13], v[12:13], v[48:49]
	v_mul_f64 v[6:7], v[0:1], s[48:49]
	v_accvgpr_read_b32 v9, a167
	v_accvgpr_read_b32 v66, a158
	v_add_f64 v[12:13], v[128:129], v[12:13]
	v_add_f64 v[6:7], v[8:9], -v[6:7]
	v_mul_f64 v[8:9], v[76:77], s[58:59]
	v_accvgpr_read_b32 v67, a159
	v_add_f64 v[18:19], v[54:55], v[18:19]
	v_accvgpr_read_b32 v44, a128
	v_add_f64 v[12:13], v[32:33], v[12:13]
	v_mul_f64 v[52:53], v[232:233], s[42:43]
	v_add_f64 v[8:9], v[66:67], -v[8:9]
	v_add_f64 v[18:19], v[58:59], v[18:19]
	v_accvgpr_read_b32 v34, a140
	v_accvgpr_read_b32 v45, a129
	v_add_f64 v[12:13], v[42:43], v[12:13]
	v_mul_f64 v[56:57], v[78:79], s[16:17]
	v_add_f64 v[8:9], v[8:9], v[18:19]
	v_accvgpr_read_b32 v18, a150
	v_accvgpr_read_b32 v35, a141
	v_add_f64 v[44:45], v[52:53], v[44:45]
	v_add_f64 v[12:13], v[46:47], v[12:13]
	v_mul_f64 v[64:65], v[202:203], s[6:7]
	v_accvgpr_read_b32 v19, a151
	v_add_f64 v[34:35], v[56:57], v[34:35]
	v_add_f64 v[12:13], v[44:45], v[12:13]
	;; [unrolled: 1-line block ×5, first 2 shown]
	v_accvgpr_read_b32 v18, a130
	v_mul_f64 v[20:21], v[200:201], s[38:39]
	v_accvgpr_read_b32 v19, a131
	v_add_f64 v[18:19], v[18:19], -v[20:21]
	v_accvgpr_read_b32 v20, a118
	v_accvgpr_read_b32 v32, a92
	v_mul_f64 v[22:23], v[234:235], s[30:31]
	v_mul_f64 v[26:27], v[246:247], s[26:27]
	v_accvgpr_read_b32 v21, a119
	v_accvgpr_read_b32 v33, a93
	v_add_f64 v[20:21], v[20:21], -v[26:27]
	v_accvgpr_read_b32 v26, a110
	v_add_f64 v[22:23], v[32:33], -v[22:23]
	v_accvgpr_read_b32 v32, a190
	v_mul_f64 v[14:15], v[238:239], s[28:29]
	v_mul_f64 v[30:31], v[240:241], s[22:23]
	v_accvgpr_read_b32 v27, a111
	v_accvgpr_read_b32 v33, a191
	v_add_f64 v[26:27], v[26:27], -v[30:31]
	v_accvgpr_read_b32 v30, a100
	v_add_f64 v[14:15], v[32:33], -v[14:15]
	v_mul_f64 v[40:41], v[254:255], s[18:19]
	v_accvgpr_read_b32 v31, a101
	v_add_f64 v[14:15], v[130:131], v[14:15]
	v_add_f64 v[30:31], v[30:31], -v[40:41]
	v_add_f64 v[14:15], v[22:23], v[14:15]
	v_add_f64 v[14:15], v[30:31], v[14:15]
	;; [unrolled: 1-line block ×3, first 2 shown]
	v_accvgpr_read_b32 v6, a160
	v_add_f64 v[14:15], v[26:27], v[14:15]
	v_accvgpr_read_b32 v26, a206
	v_mul_f64 v[10:11], v[252:253], s[20:21]
	v_mul_f64 v[68:69], v[242:243], s[0:1]
	v_accvgpr_read_b32 v7, a161
	v_add_f64 v[14:15], v[20:21], v[14:15]
	v_accvgpr_read_b32 v27, a207
	v_add_f64 v[6:7], v[68:69], v[6:7]
	v_add_f64 v[14:15], v[18:19], v[14:15]
	v_accvgpr_read_b32 v18, a126
	v_add_f64 v[10:11], v[10:11], v[26:27]
	v_accvgpr_read_b32 v26, a186
	v_mul_f64 v[16:17], v[236:237], s[0:1]
	v_mul_f64 v[24:25], v[78:79], s[40:41]
	v_add_f64 v[6:7], v[6:7], v[12:13]
	v_accvgpr_read_b32 v12, a156
	v_accvgpr_read_b32 v19, a127
	;; [unrolled: 1-line block ×3, first 2 shown]
	v_mul_f64 v[0:1], v[0:1], s[36:37]
	v_accvgpr_read_b32 v13, a157
	v_add_f64 v[18:19], v[24:25], v[18:19]
	v_accvgpr_read_b32 v24, a98
	v_add_f64 v[16:17], v[16:17], v[26:27]
	v_mul_f64 v[38:39], v[250:251], s[6:7]
	v_add_f64 v[0:1], v[12:13], -v[0:1]
	v_accvgpr_read_b32 v12, a144
	v_accvgpr_read_b32 v22, a106
	;; [unrolled: 1-line block ×3, first 2 shown]
	v_add_f64 v[16:17], v[128:129], v[16:17]
	v_mul_f64 v[36:37], v[248:249], s[24:25]
	v_mul_f64 v[62:63], v[76:77], s[54:55]
	v_accvgpr_read_b32 v13, a145
	v_accvgpr_read_b32 v20, a114
	;; [unrolled: 1-line block ×3, first 2 shown]
	v_add_f64 v[24:25], v[38:39], v[24:25]
	v_add_f64 v[10:11], v[10:11], v[16:17]
	v_mul_f64 v[28:29], v[232:233], s[16:17]
	v_add_f64 v[12:13], v[12:13], -v[62:63]
	v_accvgpr_read_b32 v21, a115
	v_add_f64 v[22:23], v[36:37], v[22:23]
	v_add_f64 v[10:11], v[24:25], v[10:11]
	;; [unrolled: 1-line block ×3, first 2 shown]
	v_accvgpr_read_b32 v14, a138
	v_add_f64 v[20:21], v[28:29], v[20:21]
	v_add_f64 v[10:11], v[22:23], v[10:11]
	v_mul_f64 v[60:61], v[202:203], s[42:43]
	v_add_f64 v[12:13], v[0:1], v[12:13]
	v_accvgpr_read_b32 v0, a148
	v_accvgpr_read_b32 v15, a139
	v_add_f64 v[10:11], v[20:21], v[10:11]
	v_mul_f64 v[66:67], v[242:243], s[34:35]
	v_accvgpr_read_b32 v1, a149
	v_add_f64 v[14:15], v[60:61], v[14:15]
	v_add_f64 v[10:11], v[18:19], v[10:11]
	;; [unrolled: 1-line block ×37, first 2 shown]
	v_accvgpr_read_b32 v0, a4
	v_accvgpr_write_b32 a223, v87
	v_mul_lo_u16_e32 v0, 17, v0
	v_accvgpr_read_b32 v1, a1
	v_accvgpr_write_b32 a222, v86
	v_accvgpr_write_b32 a221, v85
	;; [unrolled: 1-line block ×3, first 2 shown]
	v_accvgpr_read_b32 v84, a224
	v_accvgpr_read_b32 v70, a70
	;; [unrolled: 1-line block ×4, first 2 shown]
	v_lshl_add_u32 v0, v0, 4, v1
	v_accvgpr_read_b32 v85, a225
	v_accvgpr_read_b32 v86, a226
	;; [unrolled: 1-line block ×15, first 2 shown]
	ds_write_b128 v0, v[14:17]
	ds_write_b128 v0, v[10:13] offset:16
	ds_write_b128 v0, v[6:9] offset:32
	;; [unrolled: 1-line block ×4, first 2 shown]
	v_accvgpr_read_b32 v228, a0
	ds_write_b128 v0, v[224:227] offset:80
	ds_write_b128 v0, v[220:223] offset:96
	ds_write_b128 v0, a[74:77] offset:112
	ds_write_b128 v0, a[192:195] offset:128
	ds_write_b128 v0, a[180:183] offset:144
	ds_write_b128 v0, a[220:223] offset:160
	ds_write_b128 v0, v[216:219] offset:176
	ds_write_b128 v0, v[192:195] offset:192
	ds_write_b128 v0, v[196:199] offset:208
	ds_write_b128 v0, v[184:187] offset:224
	ds_write_b128 v0, v[180:183] offset:240
	ds_write_b128 v0, v[188:191] offset:256
.LBB0_17:
	s_or_b64 exec, exec, s[50:51]
	s_waitcnt lgkmcnt(0)
	s_barrier
	ds_read_b128 v[116:119], v50
	ds_read_b128 v[112:115], v50 offset:1632
	ds_read_b128 v[156:159], v50 offset:3536
	;; [unrolled: 1-line block ×11, first 2 shown]
	s_and_saveexec_b64 s[0:1], s[2:3]
	s_cbranch_execz .LBB0_19
; %bb.18:
	ds_read_b128 v[192:195], v50 offset:3264
	ds_read_b128 v[196:199], v50 offset:6800
	;; [unrolled: 1-line block ×6, first 2 shown]
.LBB0_19:
	s_or_b64 exec, exec, s[0:1]
	v_accvgpr_read_b32 v2, a38
	v_accvgpr_read_b32 v4, a40
	;; [unrolled: 1-line block ×3, first 2 shown]
	s_waitcnt lgkmcnt(9)
	v_mul_f64 v[10:11], v[4:5], v[158:159]
	v_mul_f64 v[0:1], v[4:5], v[156:157]
	v_accvgpr_read_b32 v4, a34
	v_accvgpr_read_b32 v3, a39
	;; [unrolled: 1-line block ×5, first 2 shown]
	v_fmac_f64_e32 v[10:11], v[2:3], v[156:157]
	v_fma_f64 v[12:13], v[2:3], v[158:159], -v[0:1]
	v_accvgpr_read_b32 v5, a35
	s_waitcnt lgkmcnt(7)
	v_mul_f64 v[0:1], v[6:7], v[154:155]
	v_mul_f64 v[2:3], v[6:7], v[152:153]
	v_accvgpr_read_b32 v16, a32
	v_accvgpr_read_b32 v17, a33
	v_fmac_f64_e32 v[0:1], v[4:5], v[152:153]
	v_fma_f64 v[2:3], v[4:5], v[154:155], -v[2:3]
	s_waitcnt lgkmcnt(5)
	v_mul_f64 v[4:5], v[16:17], v[150:151]
	v_mul_f64 v[6:7], v[16:17], v[148:149]
	v_accvgpr_read_b32 v16, a26
	v_accvgpr_read_b32 v15, a31
	;; [unrolled: 1-line block ×5, first 2 shown]
	v_fmac_f64_e32 v[4:5], v[14:15], v[148:149]
	v_fma_f64 v[6:7], v[14:15], v[150:151], -v[6:7]
	v_accvgpr_read_b32 v17, a27
	s_waitcnt lgkmcnt(3)
	v_mul_f64 v[8:9], v[18:19], v[146:147]
	v_mul_f64 v[14:15], v[18:19], v[144:145]
	v_accvgpr_read_b32 v22, a56
	v_accvgpr_read_b32 v23, a57
	v_fmac_f64_e32 v[8:9], v[16:17], v[144:145]
	v_fma_f64 v[14:15], v[16:17], v[146:147], -v[14:15]
	s_waitcnt lgkmcnt(1)
	v_mul_f64 v[16:17], v[22:23], v[142:143]
	v_mul_f64 v[18:19], v[22:23], v[140:141]
	v_accvgpr_read_b32 v22, a58
	v_accvgpr_read_b32 v21, a55
	;; [unrolled: 1-line block ×5, first 2 shown]
	v_fmac_f64_e32 v[16:17], v[20:21], v[140:141]
	v_fma_f64 v[18:19], v[20:21], v[142:143], -v[18:19]
	v_accvgpr_read_b32 v23, a59
	v_mul_f64 v[20:21], v[24:25], v[136:137]
	v_accvgpr_read_b32 v28, a52
	v_accvgpr_read_b32 v29, a53
	;; [unrolled: 1-line block ×3, first 2 shown]
	v_mul_f64 v[34:35], v[24:25], v[138:139]
	v_fma_f64 v[36:37], v[22:23], v[138:139], -v[20:21]
	v_accvgpr_read_b32 v27, a51
	v_mul_f64 v[24:25], v[28:29], v[134:135]
	v_mul_f64 v[20:21], v[28:29], v[132:133]
	v_accvgpr_read_b32 v32, a44
	v_accvgpr_read_b32 v33, a45
	;; [unrolled: 1-line block ×3, first 2 shown]
	v_fmac_f64_e32 v[24:25], v[26:27], v[132:133]
	v_fma_f64 v[26:27], v[26:27], v[134:135], -v[20:21]
	v_accvgpr_read_b32 v31, a43
	v_mul_f64 v[28:29], v[32:33], v[130:131]
	v_mul_f64 v[20:21], v[32:33], v[128:129]
	v_accvgpr_read_b32 v40, a48
	v_accvgpr_read_b32 v41, a49
	v_accvgpr_read_b32 v42, a62
	v_fmac_f64_e32 v[28:29], v[30:31], v[128:129]
	v_fma_f64 v[30:31], v[30:31], v[130:131], -v[20:21]
	v_accvgpr_read_b32 v39, a47
	v_mul_f64 v[32:33], v[40:41], v[126:127]
	v_mul_f64 v[20:21], v[40:41], v[124:125]
	v_accvgpr_read_b32 v44, a64
	v_accvgpr_read_b32 v45, a65
	v_fmac_f64_e32 v[34:35], v[22:23], v[136:137]
	v_fmac_f64_e32 v[32:33], v[38:39], v[124:125]
	v_fma_f64 v[38:39], v[38:39], v[126:127], -v[20:21]
	v_accvgpr_read_b32 v43, a63
	s_waitcnt lgkmcnt(0)
	v_mul_f64 v[40:41], v[44:45], v[122:123]
	v_mul_f64 v[20:21], v[44:45], v[120:121]
	v_add_f64 v[22:23], v[0:1], v[8:9]
	s_mov_b32 s0, 0xe8584caa
	v_fmac_f64_e32 v[40:41], v[42:43], v[120:121]
	v_fma_f64 v[42:43], v[42:43], v[122:123], -v[20:21]
	v_add_f64 v[20:21], v[116:117], v[0:1]
	v_fmac_f64_e32 v[116:117], -0.5, v[22:23]
	v_add_f64 v[22:23], v[2:3], -v[14:15]
	s_mov_b32 s1, 0xbfebb67a
	s_mov_b32 s7, 0x3febb67a
	s_mov_b32 s6, s0
	v_fma_f64 v[44:45], s[0:1], v[22:23], v[116:117]
	v_fmac_f64_e32 v[116:117], s[6:7], v[22:23]
	v_add_f64 v[22:23], v[118:119], v[2:3]
	v_add_f64 v[2:3], v[2:3], v[14:15]
	v_fmac_f64_e32 v[118:119], -0.5, v[2:3]
	v_add_f64 v[0:1], v[0:1], -v[8:9]
	v_fma_f64 v[46:47], s[6:7], v[0:1], v[118:119]
	v_fmac_f64_e32 v[118:119], s[0:1], v[0:1]
	v_add_f64 v[0:1], v[10:11], v[4:5]
	v_add_f64 v[22:23], v[22:23], v[14:15]
	;; [unrolled: 1-line block ×4, first 2 shown]
	v_fmac_f64_e32 v[10:11], -0.5, v[0:1]
	v_add_f64 v[0:1], v[6:7], -v[18:19]
	v_fma_f64 v[48:49], s[0:1], v[0:1], v[10:11]
	v_fmac_f64_e32 v[10:11], s[6:7], v[0:1]
	v_add_f64 v[0:1], v[12:13], v[6:7]
	v_add_f64 v[52:53], v[0:1], v[18:19]
	;; [unrolled: 1-line block ×3, first 2 shown]
	v_fmac_f64_e32 v[12:13], -0.5, v[0:1]
	v_add_f64 v[0:1], v[4:5], -v[16:17]
	v_fma_f64 v[6:7], s[6:7], v[0:1], v[12:13]
	v_fmac_f64_e32 v[12:13], s[0:1], v[0:1]
	v_mul_f64 v[18:19], v[12:13], s[0:1]
	v_mul_f64 v[54:55], v[6:7], 0.5
	v_add_f64 v[20:21], v[20:21], v[8:9]
	v_mul_f64 v[16:17], v[6:7], s[0:1]
	v_fmac_f64_e32 v[18:19], -0.5, v[10:11]
	v_fmac_f64_e32 v[54:55], s[6:7], v[48:49]
	v_add_f64 v[0:1], v[20:21], v[14:15]
	v_fmac_f64_e32 v[16:17], 0.5, v[48:49]
	v_add_f64 v[8:9], v[116:117], v[18:19]
	v_add_f64 v[6:7], v[46:47], v[54:55]
	v_mul_f64 v[48:49], v[12:13], -0.5
	v_add_f64 v[12:13], v[20:21], -v[14:15]
	v_add_f64 v[20:21], v[116:117], -v[18:19]
	v_add_f64 v[18:19], v[46:47], -v[54:55]
	v_add_f64 v[46:47], v[24:25], v[32:33]
	v_add_f64 v[4:5], v[44:45], v[16:17]
	v_fmac_f64_e32 v[48:49], s[6:7], v[10:11]
	v_add_f64 v[16:17], v[44:45], -v[16:17]
	v_add_f64 v[44:45], v[112:113], v[24:25]
	v_fmac_f64_e32 v[112:113], -0.5, v[46:47]
	v_add_f64 v[46:47], v[26:27], -v[38:39]
	v_add_f64 v[2:3], v[22:23], v[52:53]
	v_add_f64 v[10:11], v[118:119], v[48:49]
	v_add_f64 v[14:15], v[22:23], -v[52:53]
	v_add_f64 v[22:23], v[118:119], -v[48:49]
	v_fma_f64 v[48:49], s[0:1], v[46:47], v[112:113]
	v_fmac_f64_e32 v[112:113], s[6:7], v[46:47]
	v_add_f64 v[46:47], v[114:115], v[26:27]
	v_add_f64 v[26:27], v[26:27], v[38:39]
	v_fmac_f64_e32 v[114:115], -0.5, v[26:27]
	v_add_f64 v[24:25], v[24:25], -v[32:33]
	v_fma_f64 v[52:53], s[6:7], v[24:25], v[114:115]
	v_fmac_f64_e32 v[114:115], s[0:1], v[24:25]
	v_add_f64 v[24:25], v[34:35], v[28:29]
	v_add_f64 v[46:47], v[46:47], v[38:39]
	;; [unrolled: 1-line block ×4, first 2 shown]
	v_fmac_f64_e32 v[34:35], -0.5, v[24:25]
	v_add_f64 v[24:25], v[30:31], -v[42:43]
	v_fma_f64 v[54:55], s[0:1], v[24:25], v[34:35]
	v_fmac_f64_e32 v[34:35], s[6:7], v[24:25]
	v_add_f64 v[24:25], v[36:37], v[30:31]
	v_add_f64 v[56:57], v[24:25], v[42:43]
	;; [unrolled: 1-line block ×3, first 2 shown]
	v_fmac_f64_e32 v[36:37], -0.5, v[24:25]
	v_add_f64 v[24:25], v[28:29], -v[40:41]
	v_fma_f64 v[30:31], s[6:7], v[24:25], v[36:37]
	v_fmac_f64_e32 v[36:37], s[0:1], v[24:25]
	v_mul_f64 v[40:41], v[30:31], s[0:1]
	v_mul_f64 v[58:59], v[30:31], 0.5
	v_fmac_f64_e32 v[40:41], 0.5, v[54:55]
	v_mul_f64 v[42:43], v[36:37], s[0:1]
	v_fmac_f64_e32 v[58:59], s[6:7], v[54:55]
	v_mul_f64 v[54:55], v[36:37], -0.5
	v_add_f64 v[44:45], v[44:45], v[32:33]
	v_fmac_f64_e32 v[42:43], -0.5, v[34:35]
	v_fmac_f64_e32 v[54:55], s[6:7], v[34:35]
	v_add_f64 v[24:25], v[44:45], v[38:39]
	v_add_f64 v[28:29], v[48:49], v[40:41]
	;; [unrolled: 1-line block ×6, first 2 shown]
	v_add_f64 v[36:37], v[44:45], -v[38:39]
	v_add_f64 v[40:41], v[48:49], -v[40:41]
	;; [unrolled: 1-line block ×6, first 2 shown]
	s_barrier
	ds_write_b128 v211, v[0:3]
	ds_write_b128 v211, v[4:7] offset:272
	ds_write_b128 v211, v[8:11] offset:544
	;; [unrolled: 1-line block ×5, first 2 shown]
	ds_write_b128 v212, v[24:27]
	ds_write_b128 v212, v[28:31] offset:272
	ds_write_b128 v212, v[32:35] offset:544
	;; [unrolled: 1-line block ×5, first 2 shown]
	s_and_saveexec_b64 s[16:17], s[2:3]
	s_cbranch_execz .LBB0_21
; %bb.20:
	v_accvgpr_read_b32 v6, a18
	v_accvgpr_read_b32 v19, a17
	v_accvgpr_read_b32 v8, a20
	v_accvgpr_read_b32 v9, a21
	v_accvgpr_read_b32 v18, a16
	v_accvgpr_read_b32 v29, a13
	v_accvgpr_read_b32 v39, a25
	v_accvgpr_read_b32 v40, a82
	v_accvgpr_read_b32 v7, a19
	v_mul_f64 v[0:1], v[8:9], v[184:185]
	v_accvgpr_read_b32 v17, a15
	v_accvgpr_read_b32 v16, a14
	v_mul_f64 v[2:3], v[18:19], v[188:189]
	v_accvgpr_read_b32 v35, a9
	v_accvgpr_read_b32 v28, a12
	;; [unrolled: 1-line block ×5, first 2 shown]
	v_fma_f64 v[0:1], v[6:7], v[186:187], -v[0:1]
	v_fma_f64 v[4:5], v[16:17], v[190:191], -v[2:3]
	v_accvgpr_read_b32 v34, a8
	v_accvgpr_read_b32 v27, a11
	;; [unrolled: 1-line block ×3, first 2 shown]
	v_mul_f64 v[20:21], v[28:29], v[182:183]
	v_accvgpr_read_b32 v37, a23
	v_accvgpr_read_b32 v36, a22
	;; [unrolled: 1-line block ×3, first 2 shown]
	v_mul_f64 v[22:23], v[38:39], v[42:43]
	v_add_f64 v[2:3], v[0:1], v[4:5]
	v_mul_f64 v[14:15], v[18:19], v[190:191]
	v_accvgpr_read_b32 v33, a7
	v_accvgpr_read_b32 v32, a6
	v_mul_f64 v[18:19], v[34:35], v[198:199]
	v_fmac_f64_e32 v[20:21], v[26:27], v[180:181]
	v_fmac_f64_e32 v[22:23], v[36:37], v[40:41]
	v_fma_f64 v[12:13], -0.5, v[2:3], v[194:195]
	v_fmac_f64_e32 v[18:19], v[32:33], v[196:197]
	v_add_f64 v[2:3], v[20:21], v[22:23]
	v_fma_f64 v[24:25], -0.5, v[2:3], v[18:19]
	v_mul_f64 v[2:3], v[28:29], v[180:181]
	v_fma_f64 v[10:11], v[26:27], v[182:183], -v[2:3]
	v_mul_f64 v[2:3], v[38:39], v[40:41]
	v_fma_f64 v[26:27], v[36:37], v[42:43], -v[2:3]
	;; [unrolled: 2-line block ×3, first 2 shown]
	v_add_f64 v[2:3], v[10:11], v[26:27]
	v_fma_f64 v[34:35], -0.5, v[2:3], v[32:33]
	v_add_f64 v[36:37], v[20:21], -v[22:23]
	v_mul_f64 v[8:9], v[8:9], v[186:187]
	v_add_f64 v[28:29], v[10:11], -v[26:27]
	v_fma_f64 v[38:39], s[0:1], v[36:37], v[34:35]
	v_fmac_f64_e32 v[8:9], v[6:7], v[184:185]
	v_fmac_f64_e32 v[14:15], v[16:17], v[188:189]
	v_fma_f64 v[30:31], s[6:7], v[28:29], v[24:25]
	v_mul_f64 v[40:41], v[38:39], -0.5
	v_fmac_f64_e32 v[34:35], s[6:7], v[36:37]
	v_mul_f64 v[38:39], v[38:39], s[0:1]
	v_add_f64 v[6:7], v[8:9], -v[14:15]
	v_fmac_f64_e32 v[40:41], s[6:7], v[30:31]
	v_fmac_f64_e32 v[24:25], s[0:1], v[28:29]
	v_mul_f64 v[28:29], v[34:35], 0.5
	v_add_f64 v[10:11], v[32:33], v[10:11]
	v_add_f64 v[32:33], v[8:9], v[14:15]
	v_fmac_f64_e32 v[38:39], -0.5, v[30:31]
	v_mul_f64 v[30:31], v[34:35], s[0:1]
	v_add_f64 v[8:9], v[192:193], v[8:9]
	v_fmac_f64_e32 v[28:29], s[6:7], v[24:25]
	v_fmac_f64_e32 v[30:31], 0.5, v[24:25]
	v_add_f64 v[24:25], v[8:9], v[14:15]
	v_add_f64 v[8:9], v[18:19], v[20:21]
	;; [unrolled: 1-line block ×6, first 2 shown]
	v_fma_f64 v[32:33], -0.5, v[32:33], v[192:193]
	v_add_f64 v[4:5], v[0:1], -v[4:5]
	v_add_f64 v[8:9], v[24:25], -v[20:21]
	v_add_f64 v[20:21], v[24:25], v[20:21]
	v_accvgpr_read_b32 v24, a1
	v_fma_f64 v[16:17], s[0:1], v[6:7], v[12:13]
	v_fmac_f64_e32 v[12:13], s[6:7], v[6:7]
	v_fma_f64 v[42:43], s[6:7], v[4:5], v[32:33]
	v_fmac_f64_e32 v[32:33], s[0:1], v[4:5]
	v_add_f64 v[22:23], v[36:37], v[26:27]
	v_lshl_add_u32 v24, v210, 4, v24
	v_add_f64 v[2:3], v[16:17], -v[40:41]
	v_add_f64 v[6:7], v[12:13], -v[28:29]
	v_add_f64 v[10:11], v[36:37], -v[26:27]
	v_add_f64 v[0:1], v[42:43], -v[38:39]
	v_add_f64 v[4:5], v[32:33], -v[30:31]
	v_add_f64 v[14:15], v[16:17], v[40:41]
	v_add_f64 v[18:19], v[12:13], v[28:29]
	;; [unrolled: 1-line block ×4, first 2 shown]
	ds_write_b128 v24, v[20:23] offset:19584
	ds_write_b128 v24, v[16:19] offset:19856
	;; [unrolled: 1-line block ×6, first 2 shown]
.LBB0_21:
	s_or_b64 exec, exec, s[16:17]
	s_waitcnt lgkmcnt(0)
	s_barrier
	ds_read_b128 v[4:7], v50
	ds_read_b128 v[0:3], v50 offset:1632
	ds_read_b128 v[8:11], v50 offset:3264
	;; [unrolled: 1-line block ×12, first 2 shown]
	s_waitcnt lgkmcnt(11)
	v_mul_f64 v[48:49], v[62:63], v[2:3]
	v_fmac_f64_e32 v[48:49], v[60:61], v[0:1]
	v_mul_f64 v[0:1], v[62:63], v[0:1]
	v_fma_f64 v[60:61], v[60:61], v[2:3], -v[0:1]
	s_waitcnt lgkmcnt(10)
	v_mul_f64 v[0:1], v[82:83], v[8:9]
	v_fma_f64 v[64:65], v[80:81], v[10:11], -v[0:1]
	s_waitcnt lgkmcnt(9)
	;; [unrolled: 3-line block ×3, first 2 shown]
	v_mul_f64 v[0:1], v[68:69], v[16:17]
	v_mul_f64 v[62:63], v[82:83], v[10:11]
	v_fma_f64 v[26:27], v[66:67], v[18:19], -v[0:1]
	s_waitcnt lgkmcnt(7)
	v_mul_f64 v[0:1], v[94:95], v[20:21]
	v_fmac_f64_e32 v[62:63], v[80:81], v[8:9]
	v_mul_f64 v[24:25], v[68:69], v[18:19]
	v_fma_f64 v[18:19], v[92:93], v[22:23], -v[0:1]
	s_waitcnt lgkmcnt(6)
	v_mul_f64 v[8:9], v[90:91], v[30:31]
	v_mul_f64 v[0:1], v[90:91], v[28:29]
	v_fmac_f64_e32 v[8:9], v[88:89], v[28:29]
	v_fma_f64 v[10:11], v[88:89], v[30:31], -v[0:1]
	v_accvgpr_read_b32 v28, a86
	s_waitcnt lgkmcnt(5)
	v_mul_f64 v[0:1], v[86:87], v[36:37]
	v_accvgpr_read_b32 v30, a88
	v_accvgpr_read_b32 v31, a89
	v_mul_f64 v[32:33], v[72:73], v[14:15]
	v_fma_f64 v[14:15], v[84:85], v[38:39], -v[0:1]
	v_accvgpr_read_b32 v29, a87
	s_waitcnt lgkmcnt(4)
	v_mul_f64 v[0:1], v[30:31], v[40:41]
	v_fmac_f64_e32 v[24:25], v[66:67], v[16:17]
	v_mul_f64 v[16:17], v[94:95], v[22:23]
	v_fma_f64 v[22:23], v[28:29], v[42:43], -v[0:1]
	s_waitcnt lgkmcnt(3)
	v_mul_f64 v[0:1], v[110:111], v[44:45]
	v_fmac_f64_e32 v[16:17], v[92:93], v[20:21]
	v_mul_f64 v[20:21], v[30:31], v[42:43]
	v_fma_f64 v[30:31], v[108:109], v[46:47], -v[0:1]
	;; [unrolled: 5-line block ×3, first 2 shown]
	s_waitcnt lgkmcnt(1)
	v_mul_f64 v[0:1], v[102:103], v[56:57]
	v_fma_f64 v[42:43], v[100:101], v[58:59], -v[0:1]
	s_waitcnt lgkmcnt(0)
	v_mul_f64 v[0:1], v[98:99], v[76:77]
	v_add_f64 v[2:3], v[6:7], v[60:61]
	v_fmac_f64_e32 v[20:21], v[28:29], v[40:41]
	v_mul_f64 v[28:29], v[110:111], v[46:47]
	v_fma_f64 v[46:47], v[96:97], v[78:79], -v[0:1]
	v_add_f64 v[0:1], v[4:5], v[48:49]
	v_add_f64 v[2:3], v[2:3], v[64:65]
	;; [unrolled: 1-line block ×10, first 2 shown]
	v_fmac_f64_e32 v[12:13], v[84:85], v[36:37]
	v_add_f64 v[0:1], v[0:1], v[8:9]
	v_add_f64 v[2:3], v[2:3], v[14:15]
	;; [unrolled: 1-line block ×4, first 2 shown]
	v_fmac_f64_e32 v[28:29], v[108:109], v[44:45]
	v_mul_f64 v[36:37], v[106:107], v[54:55]
	v_add_f64 v[0:1], v[0:1], v[20:21]
	v_add_f64 v[2:3], v[2:3], v[30:31]
	v_fmac_f64_e32 v[36:37], v[104:105], v[52:53]
	v_mul_f64 v[40:41], v[102:103], v[58:59]
	v_add_f64 v[0:1], v[0:1], v[28:29]
	v_add_f64 v[2:3], v[2:3], v[38:39]
	;; [unrolled: 4-line block ×3, first 2 shown]
	s_mov_b32 s22, 0x4267c47c
	s_mov_b32 s16, 0x42a4c3d2
	s_mov_b32 s0, 0x66966769
	s_mov_b32 s28, 0x2ef20147
	s_mov_b32 s36, 0x24c2f84
	s_mov_b32 s42, 0x4bc48dbf
	v_fmac_f64_e32 v[44:45], v[96:97], v[76:77]
	v_add_f64 v[0:1], v[0:1], v[40:41]
	v_add_f64 v[2:3], v[2:3], v[46:47]
	v_add_f64 v[54:55], v[60:61], v[46:47]
	v_add_f64 v[46:47], v[60:61], -v[46:47]
	s_mov_b32 s23, 0xbfddbe06
	s_mov_b32 s24, 0xe00740e9
	;; [unrolled: 1-line block ×12, first 2 shown]
	v_add_f64 v[0:1], v[0:1], v[44:45]
	v_add_f64 v[52:53], v[48:49], v[44:45]
	v_add_f64 v[44:45], v[48:49], -v[44:45]
	v_mul_f64 v[48:49], v[46:47], s[22:23]
	s_mov_b32 s25, 0x3fec55a7
	v_mul_f64 v[66:67], v[46:47], s[16:17]
	s_mov_b32 s19, 0x3fe22d96
	;; [unrolled: 2-line block ×6, first 2 shown]
	v_fma_f64 v[56:57], s[24:25], v[52:53], v[48:49]
	v_fma_f64 v[48:49], v[52:53], s[24:25], -v[48:49]
	v_fma_f64 v[68:69], s[18:19], v[52:53], v[66:67]
	v_fma_f64 v[66:67], v[52:53], s[18:19], -v[66:67]
	;; [unrolled: 2-line block ×6, first 2 shown]
	v_add_f64 v[56:57], v[4:5], v[56:57]
	v_mul_f64 v[58:59], v[54:55], s[24:25]
	s_mov_b32 s27, 0x3fddbe06
	s_mov_b32 s26, s22
	v_add_f64 v[48:49], v[4:5], v[48:49]
	v_add_f64 v[68:69], v[4:5], v[68:69]
	v_mul_f64 v[70:71], v[54:55], s[18:19]
	s_mov_b32 s21, 0x3fea55e2
	s_mov_b32 s20, s16
	v_add_f64 v[66:67], v[4:5], v[66:67]
	;; [unrolled: 5-line block ×6, first 2 shown]
	v_add_f64 v[46:47], v[64:65], v[42:43]
	v_add_f64 v[42:43], v[64:65], -v[42:43]
	v_fma_f64 v[60:61], s[26:27], v[44:45], v[58:59]
	v_fmac_f64_e32 v[58:59], s[22:23], v[44:45]
	v_fma_f64 v[72:73], s[20:21], v[44:45], v[70:71]
	v_fmac_f64_e32 v[70:71], s[16:17], v[44:45]
	;; [unrolled: 2-line block ×6, first 2 shown]
	v_add_f64 v[44:45], v[62:63], v[40:41]
	v_mul_f64 v[52:53], v[42:43], s[16:17]
	v_add_f64 v[60:61], v[6:7], v[60:61]
	v_add_f64 v[58:59], v[6:7], v[58:59]
	;; [unrolled: 1-line block ×12, first 2 shown]
	v_fma_f64 v[54:55], s[18:19], v[44:45], v[52:53]
	v_add_f64 v[40:41], v[62:63], -v[40:41]
	v_add_f64 v[54:55], v[54:55], v[56:57]
	v_mul_f64 v[56:57], v[46:47], s[18:19]
	v_fma_f64 v[62:63], s[20:21], v[40:41], v[56:57]
	v_fma_f64 v[52:53], v[44:45], s[18:19], -v[52:53]
	v_fmac_f64_e32 v[56:57], s[16:17], v[40:41]
	v_add_f64 v[48:49], v[52:53], v[48:49]
	v_add_f64 v[52:53], v[56:57], v[58:59]
	v_mul_f64 v[56:57], v[42:43], s[28:29]
	v_fma_f64 v[58:59], s[30:31], v[44:45], v[56:57]
	v_fma_f64 v[56:57], v[44:45], s[30:31], -v[56:57]
	v_add_f64 v[56:57], v[56:57], v[66:67]
	v_mul_f64 v[66:67], v[42:43], s[42:43]
	v_add_f64 v[60:61], v[62:63], v[60:61]
	v_add_f64 v[58:59], v[58:59], v[68:69]
	v_mul_f64 v[62:63], v[46:47], s[30:31]
	v_fma_f64 v[68:69], s[44:45], v[44:45], v[66:67]
	v_fma_f64 v[66:67], v[44:45], s[44:45], -v[66:67]
	v_fma_f64 v[64:65], s[34:35], v[40:41], v[62:63]
	v_fmac_f64_e32 v[62:63], s[28:29], v[40:41]
	v_add_f64 v[66:67], v[66:67], v[74:75]
	v_mul_f64 v[74:75], v[42:43], s[40:41]
	v_add_f64 v[62:63], v[62:63], v[70:71]
	v_add_f64 v[68:69], v[68:69], v[76:77]
	v_mul_f64 v[70:71], v[46:47], s[44:45]
	v_fma_f64 v[76:77], s[38:39], v[44:45], v[74:75]
	v_fma_f64 v[74:75], v[44:45], s[38:39], -v[74:75]
	v_add_f64 v[64:65], v[64:65], v[72:73]
	v_fma_f64 v[72:73], s[46:47], v[40:41], v[70:71]
	v_fmac_f64_e32 v[70:71], s[42:43], v[40:41]
	v_add_f64 v[74:75], v[74:75], v[82:83]
	v_mul_f64 v[82:83], v[42:43], s[6:7]
	v_add_f64 v[70:71], v[70:71], v[78:79]
	v_add_f64 v[76:77], v[76:77], v[84:85]
	v_mul_f64 v[78:79], v[46:47], s[38:39]
	v_fma_f64 v[84:85], s[2:3], v[44:45], v[82:83]
	v_fma_f64 v[82:83], v[44:45], s[2:3], -v[82:83]
	v_mul_f64 v[42:43], v[42:43], s[26:27]
	v_add_f64 v[72:73], v[72:73], v[80:81]
	v_fma_f64 v[80:81], s[36:37], v[40:41], v[78:79]
	v_fmac_f64_e32 v[78:79], s[40:41], v[40:41]
	v_add_f64 v[82:83], v[82:83], v[90:91]
	v_fma_f64 v[90:91], s[24:25], v[44:45], v[42:43]
	v_fma_f64 v[42:43], v[44:45], s[24:25], -v[42:43]
	v_add_f64 v[78:79], v[78:79], v[86:87]
	v_mul_f64 v[86:87], v[46:47], s[2:3]
	v_mul_f64 v[46:47], v[46:47], s[24:25]
	v_add_f64 v[4:5], v[42:43], v[4:5]
	v_add_f64 v[42:43], v[34:35], v[38:39]
	v_add_f64 v[34:35], v[34:35], -v[38:39]
	v_add_f64 v[80:81], v[80:81], v[88:89]
	v_add_f64 v[84:85], v[84:85], v[92:93]
	v_fma_f64 v[88:89], s[0:1], v[40:41], v[86:87]
	v_fmac_f64_e32 v[86:87], s[6:7], v[40:41]
	v_fma_f64 v[92:93], s[22:23], v[40:41], v[46:47]
	v_fmac_f64_e32 v[46:47], s[26:27], v[40:41]
	v_add_f64 v[40:41], v[32:33], v[36:37]
	v_add_f64 v[32:33], v[32:33], -v[36:37]
	v_mul_f64 v[36:37], v[34:35], s[0:1]
	v_fma_f64 v[38:39], s[2:3], v[40:41], v[36:37]
	v_mul_f64 v[44:45], v[42:43], s[2:3]
	v_fma_f64 v[36:37], v[40:41], s[2:3], -v[36:37]
	v_add_f64 v[6:7], v[46:47], v[6:7]
	v_fma_f64 v[46:47], s[6:7], v[32:33], v[44:45]
	v_add_f64 v[36:37], v[36:37], v[48:49]
	v_fmac_f64_e32 v[44:45], s[0:1], v[32:33]
	v_mul_f64 v[48:49], v[34:35], s[42:43]
	v_add_f64 v[44:45], v[44:45], v[52:53]
	v_fma_f64 v[52:53], s[44:45], v[40:41], v[48:49]
	v_fma_f64 v[48:49], v[40:41], s[44:45], -v[48:49]
	v_add_f64 v[48:49], v[48:49], v[56:57]
	v_mul_f64 v[56:57], v[34:35], s[34:35]
	v_add_f64 v[38:39], v[38:39], v[54:55]
	v_add_f64 v[46:47], v[46:47], v[60:61]
	v_mul_f64 v[54:55], v[42:43], s[44:45]
	v_fma_f64 v[60:61], s[30:31], v[40:41], v[56:57]
	v_fma_f64 v[56:57], v[40:41], s[30:31], -v[56:57]
	v_add_f64 v[52:53], v[52:53], v[58:59]
	v_fma_f64 v[58:59], s[46:47], v[32:33], v[54:55]
	v_fmac_f64_e32 v[54:55], s[42:43], v[32:33]
	v_add_f64 v[56:57], v[56:57], v[66:67]
	v_mul_f64 v[66:67], v[34:35], s[26:27]
	v_add_f64 v[54:55], v[54:55], v[62:63]
	v_add_f64 v[60:61], v[60:61], v[68:69]
	v_mul_f64 v[62:63], v[42:43], s[30:31]
	v_fma_f64 v[68:69], s[24:25], v[40:41], v[66:67]
	v_fma_f64 v[66:67], v[40:41], s[24:25], -v[66:67]
	v_add_f64 v[58:59], v[58:59], v[64:65]
	v_fma_f64 v[64:65], s[28:29], v[32:33], v[62:63]
	v_fmac_f64_e32 v[62:63], s[34:35], v[32:33]
	v_add_f64 v[66:67], v[66:67], v[74:75]
	v_mul_f64 v[74:75], v[34:35], s[16:17]
	v_add_f64 v[62:63], v[62:63], v[70:71]
	v_add_f64 v[68:69], v[68:69], v[76:77]
	v_mul_f64 v[70:71], v[42:43], s[24:25]
	v_fma_f64 v[76:77], s[18:19], v[40:41], v[74:75]
	v_fma_f64 v[74:75], v[40:41], s[18:19], -v[74:75]
	v_mul_f64 v[34:35], v[34:35], s[36:37]
	v_add_f64 v[64:65], v[64:65], v[72:73]
	v_fma_f64 v[72:73], s[22:23], v[32:33], v[70:71]
	v_fmac_f64_e32 v[70:71], s[26:27], v[32:33]
	v_add_f64 v[74:75], v[74:75], v[82:83]
	v_fma_f64 v[82:83], s[38:39], v[40:41], v[34:35]
	v_fma_f64 v[34:35], v[40:41], s[38:39], -v[34:35]
	v_add_f64 v[70:71], v[70:71], v[78:79]
	v_mul_f64 v[78:79], v[42:43], s[18:19]
	v_mul_f64 v[42:43], v[42:43], s[38:39]
	v_add_f64 v[4:5], v[34:35], v[4:5]
	v_add_f64 v[34:35], v[26:27], v[30:31]
	v_add_f64 v[26:27], v[26:27], -v[30:31]
	v_add_f64 v[72:73], v[72:73], v[80:81]
	v_add_f64 v[76:77], v[76:77], v[84:85]
	v_fma_f64 v[80:81], s[20:21], v[32:33], v[78:79]
	v_fmac_f64_e32 v[78:79], s[16:17], v[32:33]
	v_fma_f64 v[84:85], s[40:41], v[32:33], v[42:43]
	v_fmac_f64_e32 v[42:43], s[36:37], v[32:33]
	v_add_f64 v[32:33], v[24:25], v[28:29]
	v_add_f64 v[24:25], v[24:25], -v[28:29]
	v_mul_f64 v[28:29], v[26:27], s[28:29]
	v_fma_f64 v[30:31], s[30:31], v[32:33], v[28:29]
	v_add_f64 v[30:31], v[30:31], v[38:39]
	v_mul_f64 v[38:39], v[34:35], s[30:31]
	v_fma_f64 v[40:41], s[34:35], v[24:25], v[38:39]
	v_fma_f64 v[28:29], v[32:33], s[30:31], -v[28:29]
	v_fmac_f64_e32 v[38:39], s[28:29], v[24:25]
	v_add_f64 v[28:29], v[28:29], v[36:37]
	v_add_f64 v[36:37], v[38:39], v[44:45]
	v_mul_f64 v[38:39], v[26:27], s[40:41]
	v_add_f64 v[6:7], v[42:43], v[6:7]
	v_fma_f64 v[42:43], s[38:39], v[32:33], v[38:39]
	v_fma_f64 v[38:39], v[32:33], s[38:39], -v[38:39]
	v_add_f64 v[38:39], v[38:39], v[48:49]
	v_mul_f64 v[48:49], v[26:27], s[26:27]
	v_add_f64 v[42:43], v[42:43], v[52:53]
	v_mul_f64 v[44:45], v[34:35], s[38:39]
	v_fma_f64 v[52:53], s[24:25], v[32:33], v[48:49]
	v_fma_f64 v[48:49], v[32:33], s[24:25], -v[48:49]
	v_add_f64 v[40:41], v[40:41], v[46:47]
	v_fma_f64 v[46:47], s[36:37], v[24:25], v[44:45]
	v_fmac_f64_e32 v[44:45], s[40:41], v[24:25]
	v_add_f64 v[48:49], v[48:49], v[56:57]
	v_mul_f64 v[56:57], v[26:27], s[0:1]
	v_add_f64 v[44:45], v[44:45], v[54:55]
	v_add_f64 v[52:53], v[52:53], v[60:61]
	v_mul_f64 v[54:55], v[34:35], s[24:25]
	v_fma_f64 v[60:61], s[2:3], v[32:33], v[56:57]
	v_fma_f64 v[56:57], v[32:33], s[2:3], -v[56:57]
	v_add_f64 v[46:47], v[46:47], v[58:59]
	v_fma_f64 v[58:59], s[22:23], v[24:25], v[54:55]
	v_fmac_f64_e32 v[54:55], s[26:27], v[24:25]
	v_add_f64 v[56:57], v[56:57], v[66:67]
	v_mul_f64 v[66:67], v[26:27], s[46:47]
	v_add_f64 v[54:55], v[54:55], v[62:63]
	v_add_f64 v[60:61], v[60:61], v[68:69]
	v_mul_f64 v[62:63], v[34:35], s[2:3]
	v_fma_f64 v[68:69], s[44:45], v[32:33], v[66:67]
	v_fma_f64 v[66:67], v[32:33], s[44:45], -v[66:67]
	v_mul_f64 v[26:27], v[26:27], s[20:21]
	v_add_f64 v[58:59], v[58:59], v[64:65]
	v_fma_f64 v[64:65], s[6:7], v[24:25], v[62:63]
	v_fmac_f64_e32 v[62:63], s[0:1], v[24:25]
	v_add_f64 v[66:67], v[66:67], v[74:75]
	v_fma_f64 v[74:75], s[18:19], v[32:33], v[26:27]
	v_fma_f64 v[26:27], v[32:33], s[18:19], -v[26:27]
	v_add_f64 v[62:63], v[62:63], v[70:71]
	v_mul_f64 v[70:71], v[34:35], s[44:45]
	v_mul_f64 v[34:35], v[34:35], s[18:19]
	v_add_f64 v[4:5], v[26:27], v[4:5]
	v_add_f64 v[26:27], v[18:19], v[22:23]
	v_add_f64 v[18:19], v[18:19], -v[22:23]
	v_add_f64 v[64:65], v[64:65], v[72:73]
	v_add_f64 v[68:69], v[68:69], v[76:77]
	v_fma_f64 v[72:73], s[42:43], v[24:25], v[70:71]
	v_fmac_f64_e32 v[70:71], s[46:47], v[24:25]
	v_fma_f64 v[76:77], s[16:17], v[24:25], v[34:35]
	v_fmac_f64_e32 v[34:35], s[20:21], v[24:25]
	v_add_f64 v[24:25], v[16:17], v[20:21]
	v_add_f64 v[16:17], v[16:17], -v[20:21]
	v_mul_f64 v[20:21], v[18:19], s[36:37]
	v_fma_f64 v[22:23], s[38:39], v[24:25], v[20:21]
	v_add_f64 v[22:23], v[22:23], v[30:31]
	v_mul_f64 v[30:31], v[26:27], s[38:39]
	v_fma_f64 v[32:33], s[40:41], v[16:17], v[30:31]
	v_fma_f64 v[20:21], v[24:25], s[38:39], -v[20:21]
	v_fmac_f64_e32 v[30:31], s[36:37], v[16:17]
	v_add_f64 v[20:21], v[20:21], v[28:29]
	v_add_f64 v[28:29], v[30:31], v[36:37]
	v_mul_f64 v[30:31], v[18:19], s[6:7]
	v_add_f64 v[6:7], v[34:35], v[6:7]
	v_fma_f64 v[34:35], s[2:3], v[24:25], v[30:31]
	v_mul_f64 v[36:37], v[26:27], s[2:3]
	v_fma_f64 v[30:31], v[24:25], s[2:3], -v[30:31]
	v_add_f64 v[32:33], v[32:33], v[40:41]
	v_fma_f64 v[40:41], s[0:1], v[16:17], v[36:37]
	v_add_f64 v[30:31], v[30:31], v[38:39]
	v_fmac_f64_e32 v[36:37], s[6:7], v[16:17]
	v_mul_f64 v[38:39], v[18:19], s[16:17]
	v_add_f64 v[34:35], v[34:35], v[42:43]
	v_add_f64 v[36:37], v[36:37], v[44:45]
	v_fma_f64 v[42:43], s[18:19], v[24:25], v[38:39]
	v_mul_f64 v[44:45], v[26:27], s[18:19]
	v_fma_f64 v[38:39], v[24:25], s[18:19], -v[38:39]
	v_add_f64 v[40:41], v[40:41], v[46:47]
	v_fma_f64 v[46:47], s[20:21], v[16:17], v[44:45]
	v_add_f64 v[38:39], v[38:39], v[48:49]
	v_fmac_f64_e32 v[44:45], s[16:17], v[16:17]
	v_mul_f64 v[48:49], v[18:19], s[46:47]
	v_add_f64 v[42:43], v[42:43], v[52:53]
	v_add_f64 v[44:45], v[44:45], v[54:55]
	v_fma_f64 v[52:53], s[44:45], v[24:25], v[48:49]
	v_mul_f64 v[54:55], v[26:27], s[44:45]
	v_fma_f64 v[48:49], v[24:25], s[44:45], -v[48:49]
	v_add_f64 v[92:93], v[92:93], v[100:101]
	v_add_f64 v[46:47], v[46:47], v[58:59]
	v_fma_f64 v[58:59], s[42:43], v[16:17], v[54:55]
	v_add_f64 v[48:49], v[48:49], v[56:57]
	v_fmac_f64_e32 v[54:55], s[46:47], v[16:17]
	v_mul_f64 v[56:57], v[18:19], s[26:27]
	v_add_f64 v[88:89], v[88:89], v[96:97]
	v_add_f64 v[90:91], v[90:91], v[98:99]
	v_add_f64 v[84:85], v[84:85], v[92:93]
	v_add_f64 v[52:53], v[52:53], v[60:61]
	v_add_f64 v[54:55], v[54:55], v[62:63]
	v_fma_f64 v[60:61], s[24:25], v[24:25], v[56:57]
	v_mul_f64 v[62:63], v[26:27], s[24:25]
	v_mul_f64 v[26:27], v[26:27], s[30:31]
	v_add_f64 v[86:87], v[86:87], v[94:95]
	v_add_f64 v[80:81], v[80:81], v[88:89]
	;; [unrolled: 1-line block ×5, first 2 shown]
	v_fma_f64 v[56:57], v[24:25], s[24:25], -v[56:57]
	v_mul_f64 v[18:19], v[18:19], s[28:29]
	v_fma_f64 v[68:69], s[34:35], v[16:17], v[26:27]
	v_add_f64 v[78:79], v[78:79], v[86:87]
	v_add_f64 v[72:73], v[72:73], v[80:81]
	;; [unrolled: 1-line block ×4, first 2 shown]
	v_fma_f64 v[66:67], s[30:31], v[24:25], v[18:19]
	v_add_f64 v[68:69], v[68:69], v[76:77]
	v_add_f64 v[76:77], v[10:11], v[14:15]
	v_add_f64 v[80:81], v[10:11], -v[14:15]
	v_add_f64 v[70:71], v[70:71], v[78:79]
	v_add_f64 v[58:59], v[58:59], v[64:65]
	v_fma_f64 v[64:65], s[22:23], v[16:17], v[62:63]
	v_fmac_f64_e32 v[62:63], s[26:27], v[16:17]
	v_add_f64 v[66:67], v[66:67], v[74:75]
	v_fmac_f64_e32 v[26:27], s[28:29], v[16:17]
	v_add_f64 v[74:75], v[8:9], v[12:13]
	v_add_f64 v[78:79], v[8:9], -v[12:13]
	v_mul_f64 v[10:11], v[76:77], s[44:45]
	v_mul_f64 v[16:17], v[80:81], s[26:27]
	v_add_f64 v[64:65], v[64:65], v[72:73]
	v_fma_f64 v[18:19], v[24:25], s[30:31], -v[18:19]
	v_add_f64 v[72:73], v[26:27], v[6:7]
	v_mul_f64 v[8:9], v[80:81], s[42:43]
	v_fma_f64 v[6:7], s[46:47], v[78:79], v[10:11]
	v_fma_f64 v[12:13], s[24:25], v[74:75], v[16:17]
	v_add_f64 v[62:63], v[62:63], v[70:71]
	v_add_f64 v[70:71], v[18:19], v[4:5]
	v_fma_f64 v[4:5], s[44:45], v[74:75], v[8:9]
	v_add_f64 v[6:7], v[6:7], v[32:33]
	v_fma_f64 v[8:9], v[74:75], s[44:45], -v[8:9]
	v_fmac_f64_e32 v[10:11], s[42:43], v[78:79]
	v_add_f64 v[12:13], v[12:13], v[34:35]
	v_mul_f64 v[18:19], v[76:77], s[24:25]
	v_fma_f64 v[16:17], v[74:75], s[24:25], -v[16:17]
	v_mul_f64 v[24:25], v[80:81], s[36:37]
	v_mul_f64 v[32:33], v[80:81], s[20:21]
	;; [unrolled: 1-line block ×3, first 2 shown]
	v_add_f64 v[8:9], v[8:9], v[20:21]
	v_add_f64 v[10:11], v[10:11], v[28:29]
	v_fma_f64 v[14:15], s[22:23], v[78:79], v[18:19]
	v_add_f64 v[16:17], v[16:17], v[30:31]
	v_fma_f64 v[20:21], s[38:39], v[74:75], v[24:25]
	v_mul_f64 v[26:27], v[76:77], s[38:39]
	v_fma_f64 v[28:29], s[18:19], v[74:75], v[32:33]
	v_fma_f64 v[30:31], s[16:17], v[78:79], v[34:35]
	v_fma_f64 v[32:33], v[74:75], s[18:19], -v[32:33]
	v_fmac_f64_e32 v[34:35], s[20:21], v[78:79]
	v_add_f64 v[4:5], v[4:5], v[22:23]
	v_add_f64 v[14:15], v[14:15], v[40:41]
	v_fmac_f64_e32 v[18:19], s[26:27], v[78:79]
	v_add_f64 v[20:21], v[20:21], v[42:43]
	v_fma_f64 v[22:23], s[40:41], v[78:79], v[26:27]
	v_fma_f64 v[24:25], v[74:75], s[38:39], -v[24:25]
	v_fmac_f64_e32 v[26:27], s[36:37], v[78:79]
	v_add_f64 v[32:33], v[32:33], v[48:49]
	v_add_f64 v[34:35], v[34:35], v[54:55]
	v_mul_f64 v[40:41], v[80:81], s[28:29]
	v_mul_f64 v[42:43], v[76:77], s[30:31]
	;; [unrolled: 1-line block ×4, first 2 shown]
	v_add_f64 v[18:19], v[18:19], v[36:37]
	v_add_f64 v[22:23], v[22:23], v[46:47]
	;; [unrolled: 1-line block ×4, first 2 shown]
	v_fma_f64 v[36:37], s[30:31], v[74:75], v[40:41]
	v_fma_f64 v[38:39], s[34:35], v[78:79], v[42:43]
	v_fma_f64 v[40:41], v[74:75], s[30:31], -v[40:41]
	v_fmac_f64_e32 v[42:43], s[28:29], v[78:79]
	v_fma_f64 v[44:45], s[2:3], v[74:75], v[48:49]
	v_fma_f64 v[46:47], s[0:1], v[78:79], v[54:55]
	v_fma_f64 v[48:49], v[74:75], s[2:3], -v[48:49]
	v_fmac_f64_e32 v[54:55], s[6:7], v[78:79]
	v_add_f64 v[28:29], v[28:29], v[52:53]
	v_add_f64 v[30:31], v[30:31], v[58:59]
	;; [unrolled: 1-line block ×10, first 2 shown]
	ds_write_b128 v51, v[0:3]
	ds_write_b128 v51, v[4:7] offset:1632
	ds_write_b128 v51, v[12:15] offset:3264
	;; [unrolled: 1-line block ×12, first 2 shown]
	s_waitcnt lgkmcnt(0)
	s_barrier
	s_and_b64 exec, exec, s[4:5]
	s_cbranch_execz .LBB0_23
; %bb.22:
	global_load_dwordx4 v[0:3], v228, s[12:13]
	v_accvgpr_read_b32 v22, a2
	v_mad_u64_u32 v[14:15], s[0:1], s10, v22, 0
	ds_read_b128 v[4:7], v51
	ds_read_b128 v[8:11], v51 offset:1248
	v_accvgpr_read_b32 v24, a4
	v_mov_b32_e32 v18, v15
	v_mad_u64_u32 v[16:17], s[2:3], s8, v24, 0
	v_mad_u64_u32 v[18:19], s[2:3], s11, v22, v[18:19]
	v_mov_b32_e32 v12, s14
	v_mov_b32_e32 v13, s15
	;; [unrolled: 1-line block ×4, first 2 shown]
	s_mov_b32 s0, 0x18b64019
	v_mad_u64_u32 v[20:21], s[2:3], s9, v24, v[20:21]
	v_lshl_add_u64 v[12:13], v[14:15], 4, v[12:13]
	s_mov_b32 s1, 0x3f48b640
	v_mov_b32_e32 v17, v20
	v_lshl_add_u64 v[12:13], v[16:17], 4, v[12:13]
	s_mul_i32 s2, s9, 0x4e0
	v_mov_b32_e32 v229, 0
	s_movk_i32 s3, 0x1000
	s_waitcnt vmcnt(0) lgkmcnt(1)
	v_mul_f64 v[14:15], v[6:7], v[2:3]
	v_mul_f64 v[2:3], v[4:5], v[2:3]
	v_fmac_f64_e32 v[14:15], v[4:5], v[0:1]
	v_fma_f64 v[2:3], v[0:1], v[6:7], -v[2:3]
	v_mul_f64 v[0:1], v[14:15], s[0:1]
	v_mul_f64 v[2:3], v[2:3], s[0:1]
	global_store_dwordx4 v[12:13], v[0:3], off
	global_load_dwordx4 v[4:7], v228, s[12:13] offset:1248
	s_nop 0
	v_mov_b32_e32 v2, 0x4e0
	v_mad_u64_u32 v[0:1], s[4:5], s8, v2, v[12:13]
	v_add_u32_e32 v1, s2, v1
	v_mad_u64_u32 v[16:17], s[4:5], s8, v2, v[0:1]
	v_add_u32_e32 v17, s2, v17
	s_waitcnt vmcnt(0) lgkmcnt(0)
	v_mul_f64 v[12:13], v[10:11], v[6:7]
	v_mul_f64 v[6:7], v[8:9], v[6:7]
	v_fmac_f64_e32 v[12:13], v[8:9], v[4:5]
	v_fma_f64 v[6:7], v[4:5], v[10:11], -v[6:7]
	v_mul_f64 v[4:5], v[12:13], s[0:1]
	v_mul_f64 v[6:7], v[6:7], s[0:1]
	global_store_dwordx4 v[0:1], v[4:7], off
	global_load_dwordx4 v[4:7], v228, s[12:13] offset:2496
	ds_read_b128 v[8:11], v51 offset:2496
	ds_read_b128 v[12:15], v51 offset:3744
	s_waitcnt vmcnt(0) lgkmcnt(1)
	v_mul_f64 v[0:1], v[10:11], v[6:7]
	v_mul_f64 v[6:7], v[8:9], v[6:7]
	v_fmac_f64_e32 v[0:1], v[8:9], v[4:5]
	v_fma_f64 v[6:7], v[4:5], v[10:11], -v[6:7]
	v_mul_f64 v[4:5], v[0:1], s[0:1]
	v_mul_f64 v[6:7], v[6:7], s[0:1]
	global_store_dwordx4 v[16:17], v[4:7], off
	global_load_dwordx4 v[4:7], v228, s[12:13] offset:3744
	v_lshl_add_u64 v[0:1], s[12:13], 0, v[228:229]
	v_mad_u64_u32 v[16:17], s[4:5], s8, v2, v[16:17]
	v_add_co_u32_e32 v18, vcc, s3, v0
	v_add_u32_e32 v17, s2, v17
	s_nop 0
	v_addc_co_u32_e32 v19, vcc, 0, v1, vcc
	s_movk_i32 s3, 0x2000
	s_waitcnt vmcnt(0) lgkmcnt(0)
	v_mul_f64 v[8:9], v[14:15], v[6:7]
	v_mul_f64 v[6:7], v[12:13], v[6:7]
	v_fmac_f64_e32 v[8:9], v[12:13], v[4:5]
	v_fma_f64 v[6:7], v[4:5], v[14:15], -v[6:7]
	v_mul_f64 v[4:5], v[8:9], s[0:1]
	v_mul_f64 v[6:7], v[6:7], s[0:1]
	global_store_dwordx4 v[16:17], v[4:7], off
	global_load_dwordx4 v[4:7], v[18:19], off offset:896
	ds_read_b128 v[8:11], v51 offset:4992
	ds_read_b128 v[12:15], v51 offset:6240
	v_mad_u64_u32 v[16:17], s[4:5], s8, v2, v[16:17]
	v_add_u32_e32 v17, s2, v17
	s_waitcnt vmcnt(0) lgkmcnt(1)
	v_mul_f64 v[20:21], v[10:11], v[6:7]
	v_mul_f64 v[6:7], v[8:9], v[6:7]
	v_fmac_f64_e32 v[20:21], v[8:9], v[4:5]
	v_fma_f64 v[6:7], v[4:5], v[10:11], -v[6:7]
	v_mul_f64 v[4:5], v[20:21], s[0:1]
	v_mul_f64 v[6:7], v[6:7], s[0:1]
	global_store_dwordx4 v[16:17], v[4:7], off
	global_load_dwordx4 v[4:7], v[18:19], off offset:2144
	v_mad_u64_u32 v[16:17], s[4:5], s8, v2, v[16:17]
	v_add_u32_e32 v17, s2, v17
	s_waitcnt vmcnt(0) lgkmcnt(0)
	v_mul_f64 v[8:9], v[14:15], v[6:7]
	v_mul_f64 v[6:7], v[12:13], v[6:7]
	v_fmac_f64_e32 v[8:9], v[12:13], v[4:5]
	v_fma_f64 v[6:7], v[4:5], v[14:15], -v[6:7]
	v_mul_f64 v[4:5], v[8:9], s[0:1]
	v_mul_f64 v[6:7], v[6:7], s[0:1]
	global_store_dwordx4 v[16:17], v[4:7], off
	global_load_dwordx4 v[4:7], v[18:19], off offset:3392
	ds_read_b128 v[8:11], v51 offset:7488
	ds_read_b128 v[12:15], v51 offset:8736
	v_mad_u64_u32 v[16:17], s[4:5], s8, v2, v[16:17]
	v_add_co_u32_e32 v18, vcc, s3, v0
	v_add_u32_e32 v17, s2, v17
	s_nop 0
	v_addc_co_u32_e32 v19, vcc, 0, v1, vcc
	s_movk_i32 s3, 0x3000
	s_waitcnt vmcnt(0) lgkmcnt(1)
	v_mul_f64 v[20:21], v[10:11], v[6:7]
	v_mul_f64 v[6:7], v[8:9], v[6:7]
	v_fmac_f64_e32 v[20:21], v[8:9], v[4:5]
	v_fma_f64 v[6:7], v[4:5], v[10:11], -v[6:7]
	v_mul_f64 v[4:5], v[20:21], s[0:1]
	v_mul_f64 v[6:7], v[6:7], s[0:1]
	global_store_dwordx4 v[16:17], v[4:7], off
	global_load_dwordx4 v[4:7], v[18:19], off offset:544
	v_mad_u64_u32 v[16:17], s[4:5], s8, v2, v[16:17]
	v_add_u32_e32 v17, s2, v17
	s_waitcnt vmcnt(0) lgkmcnt(0)
	v_mul_f64 v[8:9], v[14:15], v[6:7]
	v_mul_f64 v[6:7], v[12:13], v[6:7]
	v_fmac_f64_e32 v[8:9], v[12:13], v[4:5]
	v_fma_f64 v[6:7], v[4:5], v[14:15], -v[6:7]
	v_mul_f64 v[4:5], v[8:9], s[0:1]
	v_mul_f64 v[6:7], v[6:7], s[0:1]
	global_store_dwordx4 v[16:17], v[4:7], off
	global_load_dwordx4 v[4:7], v[18:19], off offset:1792
	ds_read_b128 v[8:11], v51 offset:9984
	ds_read_b128 v[12:15], v51 offset:11232
	v_mad_u64_u32 v[16:17], s[4:5], s8, v2, v[16:17]
	v_add_u32_e32 v17, s2, v17
	s_waitcnt vmcnt(0) lgkmcnt(1)
	v_mul_f64 v[20:21], v[10:11], v[6:7]
	v_mul_f64 v[6:7], v[8:9], v[6:7]
	v_fmac_f64_e32 v[20:21], v[8:9], v[4:5]
	v_fma_f64 v[6:7], v[4:5], v[10:11], -v[6:7]
	v_mul_f64 v[4:5], v[20:21], s[0:1]
	v_mul_f64 v[6:7], v[6:7], s[0:1]
	global_store_dwordx4 v[16:17], v[4:7], off
	global_load_dwordx4 v[4:7], v[18:19], off offset:3040
	v_mad_u64_u32 v[16:17], s[4:5], s8, v2, v[16:17]
	v_add_co_u32_e32 v18, vcc, s3, v0
	v_add_u32_e32 v17, s2, v17
	s_nop 0
	v_addc_co_u32_e32 v19, vcc, 0, v1, vcc
	s_movk_i32 s3, 0x4000
	v_add_co_u32_e32 v0, vcc, s3, v0
	s_waitcnt vmcnt(0) lgkmcnt(0)
	v_mul_f64 v[8:9], v[14:15], v[6:7]
	v_mul_f64 v[6:7], v[12:13], v[6:7]
	v_fmac_f64_e32 v[8:9], v[12:13], v[4:5]
	v_fma_f64 v[6:7], v[4:5], v[14:15], -v[6:7]
	v_mul_f64 v[4:5], v[8:9], s[0:1]
	v_mul_f64 v[6:7], v[6:7], s[0:1]
	global_store_dwordx4 v[16:17], v[4:7], off
	global_load_dwordx4 v[4:7], v[18:19], off offset:192
	ds_read_b128 v[8:11], v51 offset:12480
	ds_read_b128 v[12:15], v51 offset:13728
	v_mad_u64_u32 v[16:17], s[4:5], s8, v2, v[16:17]
	v_add_u32_e32 v17, s2, v17
	v_addc_co_u32_e32 v1, vcc, 0, v1, vcc
	s_waitcnt vmcnt(0) lgkmcnt(1)
	v_mul_f64 v[20:21], v[10:11], v[6:7]
	v_mul_f64 v[6:7], v[8:9], v[6:7]
	v_fmac_f64_e32 v[20:21], v[8:9], v[4:5]
	v_fma_f64 v[6:7], v[4:5], v[10:11], -v[6:7]
	v_mul_f64 v[4:5], v[20:21], s[0:1]
	v_mul_f64 v[6:7], v[6:7], s[0:1]
	global_store_dwordx4 v[16:17], v[4:7], off
	global_load_dwordx4 v[4:7], v[18:19], off offset:1440
	v_mad_u64_u32 v[16:17], s[4:5], s8, v2, v[16:17]
	v_add_u32_e32 v17, s2, v17
	s_waitcnt vmcnt(0) lgkmcnt(0)
	v_mul_f64 v[8:9], v[14:15], v[6:7]
	v_mul_f64 v[6:7], v[12:13], v[6:7]
	v_fmac_f64_e32 v[8:9], v[12:13], v[4:5]
	v_fma_f64 v[6:7], v[4:5], v[14:15], -v[6:7]
	v_mul_f64 v[4:5], v[8:9], s[0:1]
	v_mul_f64 v[6:7], v[6:7], s[0:1]
	global_store_dwordx4 v[16:17], v[4:7], off
	global_load_dwordx4 v[4:7], v[18:19], off offset:2688
	ds_read_b128 v[8:11], v51 offset:14976
	ds_read_b128 v[12:15], v51 offset:16224
	v_mad_u64_u32 v[16:17], s[4:5], s8, v2, v[16:17]
	v_add_u32_e32 v17, s2, v17
	s_waitcnt vmcnt(0) lgkmcnt(1)
	v_mul_f64 v[20:21], v[10:11], v[6:7]
	v_mul_f64 v[6:7], v[8:9], v[6:7]
	v_fmac_f64_e32 v[20:21], v[8:9], v[4:5]
	v_fma_f64 v[6:7], v[4:5], v[10:11], -v[6:7]
	v_mul_f64 v[4:5], v[20:21], s[0:1]
	v_mul_f64 v[6:7], v[6:7], s[0:1]
	global_store_dwordx4 v[16:17], v[4:7], off
	global_load_dwordx4 v[4:7], v[18:19], off offset:3936
	v_mad_u64_u32 v[16:17], s[4:5], s8, v2, v[16:17]
	v_add_u32_e32 v17, s2, v17
	s_waitcnt vmcnt(0) lgkmcnt(0)
	v_mul_f64 v[8:9], v[14:15], v[6:7]
	v_mul_f64 v[6:7], v[12:13], v[6:7]
	v_fmac_f64_e32 v[8:9], v[12:13], v[4:5]
	v_fma_f64 v[6:7], v[4:5], v[14:15], -v[6:7]
	v_mul_f64 v[4:5], v[8:9], s[0:1]
	v_mul_f64 v[6:7], v[6:7], s[0:1]
	global_store_dwordx4 v[16:17], v[4:7], off
	global_load_dwordx4 v[4:7], v[0:1], off offset:1088
	ds_read_b128 v[8:11], v51 offset:17472
	ds_read_b128 v[12:15], v51 offset:18720
	v_mad_u64_u32 v[16:17], s[4:5], s8, v2, v[16:17]
	v_add_u32_e32 v17, s2, v17
	s_waitcnt vmcnt(0) lgkmcnt(1)
	v_mul_f64 v[18:19], v[10:11], v[6:7]
	v_mul_f64 v[6:7], v[8:9], v[6:7]
	v_fmac_f64_e32 v[18:19], v[8:9], v[4:5]
	v_fma_f64 v[6:7], v[4:5], v[10:11], -v[6:7]
	v_mul_f64 v[4:5], v[18:19], s[0:1]
	v_mul_f64 v[6:7], v[6:7], s[0:1]
	global_store_dwordx4 v[16:17], v[4:7], off
	global_load_dwordx4 v[4:7], v[0:1], off offset:2336
	v_mad_u64_u32 v[16:17], s[4:5], s8, v2, v[16:17]
	v_add_u32_e32 v17, s2, v17
	s_waitcnt vmcnt(0) lgkmcnt(0)
	v_mul_f64 v[8:9], v[14:15], v[6:7]
	v_mul_f64 v[6:7], v[12:13], v[6:7]
	v_fmac_f64_e32 v[8:9], v[12:13], v[4:5]
	v_fma_f64 v[6:7], v[4:5], v[14:15], -v[6:7]
	v_mul_f64 v[4:5], v[8:9], s[0:1]
	v_mul_f64 v[6:7], v[6:7], s[0:1]
	global_store_dwordx4 v[16:17], v[4:7], off
	global_load_dwordx4 v[4:7], v[0:1], off offset:3584
	ds_read_b128 v[8:11], v51 offset:19968
	v_mad_u64_u32 v[12:13], s[4:5], s8, v2, v[16:17]
	v_add_u32_e32 v13, s2, v13
	s_waitcnt vmcnt(0) lgkmcnt(0)
	v_mul_f64 v[0:1], v[10:11], v[6:7]
	v_mul_f64 v[2:3], v[8:9], v[6:7]
	v_fmac_f64_e32 v[0:1], v[8:9], v[4:5]
	v_fma_f64 v[2:3], v[4:5], v[10:11], -v[2:3]
	v_mul_f64 v[0:1], v[0:1], s[0:1]
	v_mul_f64 v[2:3], v[2:3], s[0:1]
	global_store_dwordx4 v[12:13], v[0:3], off
.LBB0_23:
	s_endpgm
	.section	.rodata,"a",@progbits
	.p2align	6, 0x0
	.amdhsa_kernel bluestein_single_fwd_len1326_dim1_dp_op_CI_CI
		.amdhsa_group_segment_fixed_size 42432
		.amdhsa_private_segment_fixed_size 0
		.amdhsa_kernarg_size 104
		.amdhsa_user_sgpr_count 2
		.amdhsa_user_sgpr_dispatch_ptr 0
		.amdhsa_user_sgpr_queue_ptr 0
		.amdhsa_user_sgpr_kernarg_segment_ptr 1
		.amdhsa_user_sgpr_dispatch_id 0
		.amdhsa_user_sgpr_kernarg_preload_length 0
		.amdhsa_user_sgpr_kernarg_preload_offset 0
		.amdhsa_user_sgpr_private_segment_size 0
		.amdhsa_uses_dynamic_stack 0
		.amdhsa_enable_private_segment 0
		.amdhsa_system_sgpr_workgroup_id_x 1
		.amdhsa_system_sgpr_workgroup_id_y 0
		.amdhsa_system_sgpr_workgroup_id_z 0
		.amdhsa_system_sgpr_workgroup_info 0
		.amdhsa_system_vgpr_workitem_id 0
		.amdhsa_next_free_vgpr 488
		.amdhsa_next_free_sgpr 64
		.amdhsa_accum_offset 256
		.amdhsa_reserve_vcc 1
		.amdhsa_float_round_mode_32 0
		.amdhsa_float_round_mode_16_64 0
		.amdhsa_float_denorm_mode_32 3
		.amdhsa_float_denorm_mode_16_64 3
		.amdhsa_dx10_clamp 1
		.amdhsa_ieee_mode 1
		.amdhsa_fp16_overflow 0
		.amdhsa_tg_split 0
		.amdhsa_exception_fp_ieee_invalid_op 0
		.amdhsa_exception_fp_denorm_src 0
		.amdhsa_exception_fp_ieee_div_zero 0
		.amdhsa_exception_fp_ieee_overflow 0
		.amdhsa_exception_fp_ieee_underflow 0
		.amdhsa_exception_fp_ieee_inexact 0
		.amdhsa_exception_int_div_zero 0
	.end_amdhsa_kernel
	.text
.Lfunc_end0:
	.size	bluestein_single_fwd_len1326_dim1_dp_op_CI_CI, .Lfunc_end0-bluestein_single_fwd_len1326_dim1_dp_op_CI_CI
                                        ; -- End function
	.section	.AMDGPU.csdata,"",@progbits
; Kernel info:
; codeLenInByte = 35324
; NumSgprs: 70
; NumVgprs: 256
; NumAgprs: 232
; TotalNumVgprs: 488
; ScratchSize: 0
; MemoryBound: 0
; FloatMode: 240
; IeeeMode: 1
; LDSByteSize: 42432 bytes/workgroup (compile time only)
; SGPRBlocks: 8
; VGPRBlocks: 60
; NumSGPRsForWavesPerEU: 70
; NumVGPRsForWavesPerEU: 488
; AccumOffset: 256
; Occupancy: 1
; WaveLimiterHint : 1
; COMPUTE_PGM_RSRC2:SCRATCH_EN: 0
; COMPUTE_PGM_RSRC2:USER_SGPR: 2
; COMPUTE_PGM_RSRC2:TRAP_HANDLER: 0
; COMPUTE_PGM_RSRC2:TGID_X_EN: 1
; COMPUTE_PGM_RSRC2:TGID_Y_EN: 0
; COMPUTE_PGM_RSRC2:TGID_Z_EN: 0
; COMPUTE_PGM_RSRC2:TIDIG_COMP_CNT: 0
; COMPUTE_PGM_RSRC3_GFX90A:ACCUM_OFFSET: 63
; COMPUTE_PGM_RSRC3_GFX90A:TG_SPLIT: 0
	.text
	.p2alignl 6, 3212836864
	.fill 256, 4, 3212836864
	.type	__hip_cuid_b2e6886393df4627,@object ; @__hip_cuid_b2e6886393df4627
	.section	.bss,"aw",@nobits
	.globl	__hip_cuid_b2e6886393df4627
__hip_cuid_b2e6886393df4627:
	.byte	0                               ; 0x0
	.size	__hip_cuid_b2e6886393df4627, 1

	.ident	"AMD clang version 19.0.0git (https://github.com/RadeonOpenCompute/llvm-project roc-6.4.0 25133 c7fe45cf4b819c5991fe208aaa96edf142730f1d)"
	.section	".note.GNU-stack","",@progbits
	.addrsig
	.addrsig_sym __hip_cuid_b2e6886393df4627
	.amdgpu_metadata
---
amdhsa.kernels:
  - .agpr_count:     232
    .args:
      - .actual_access:  read_only
        .address_space:  global
        .offset:         0
        .size:           8
        .value_kind:     global_buffer
      - .actual_access:  read_only
        .address_space:  global
        .offset:         8
        .size:           8
        .value_kind:     global_buffer
      - .actual_access:  read_only
        .address_space:  global
        .offset:         16
        .size:           8
        .value_kind:     global_buffer
      - .actual_access:  read_only
        .address_space:  global
        .offset:         24
        .size:           8
        .value_kind:     global_buffer
      - .actual_access:  read_only
        .address_space:  global
        .offset:         32
        .size:           8
        .value_kind:     global_buffer
      - .offset:         40
        .size:           8
        .value_kind:     by_value
      - .address_space:  global
        .offset:         48
        .size:           8
        .value_kind:     global_buffer
      - .address_space:  global
        .offset:         56
        .size:           8
        .value_kind:     global_buffer
      - .address_space:  global
        .offset:         64
        .size:           8
        .value_kind:     global_buffer
      - .address_space:  global
        .offset:         72
        .size:           8
        .value_kind:     global_buffer
      - .offset:         80
        .size:           4
        .value_kind:     by_value
      - .address_space:  global
        .offset:         88
        .size:           8
        .value_kind:     global_buffer
      - .address_space:  global
        .offset:         96
        .size:           8
        .value_kind:     global_buffer
    .group_segment_fixed_size: 42432
    .kernarg_segment_align: 8
    .kernarg_segment_size: 104
    .language:       OpenCL C
    .language_version:
      - 2
      - 0
    .max_flat_workgroup_size: 204
    .name:           bluestein_single_fwd_len1326_dim1_dp_op_CI_CI
    .private_segment_fixed_size: 0
    .sgpr_count:     70
    .sgpr_spill_count: 0
    .symbol:         bluestein_single_fwd_len1326_dim1_dp_op_CI_CI.kd
    .uniform_work_group_size: 1
    .uses_dynamic_stack: false
    .vgpr_count:     488
    .vgpr_spill_count: 0
    .wavefront_size: 64
amdhsa.target:   amdgcn-amd-amdhsa--gfx950
amdhsa.version:
  - 1
  - 2
...

	.end_amdgpu_metadata
